;; amdgpu-corpus repo=ROCm/rocThrust kind=compiled arch=gfx906 opt=O3
	.amdgcn_target "amdgcn-amd-amdhsa--gfx906"
	.amdhsa_code_object_version 6
	.section	.text._ZN6thrust23THRUST_200600_302600_NS11hip_rocprim14__parallel_for6kernelILj256ENS0_6system3hip6detail17async_for_each_fnINS0_6detail15normal_iteratorINS0_10device_ptrIcEEEE19inplace_divide_by_2EElLj1EEEvT0_T1_SG_,"axG",@progbits,_ZN6thrust23THRUST_200600_302600_NS11hip_rocprim14__parallel_for6kernelILj256ENS0_6system3hip6detail17async_for_each_fnINS0_6detail15normal_iteratorINS0_10device_ptrIcEEEE19inplace_divide_by_2EElLj1EEEvT0_T1_SG_,comdat
	.protected	_ZN6thrust23THRUST_200600_302600_NS11hip_rocprim14__parallel_for6kernelILj256ENS0_6system3hip6detail17async_for_each_fnINS0_6detail15normal_iteratorINS0_10device_ptrIcEEEE19inplace_divide_by_2EElLj1EEEvT0_T1_SG_ ; -- Begin function _ZN6thrust23THRUST_200600_302600_NS11hip_rocprim14__parallel_for6kernelILj256ENS0_6system3hip6detail17async_for_each_fnINS0_6detail15normal_iteratorINS0_10device_ptrIcEEEE19inplace_divide_by_2EElLj1EEEvT0_T1_SG_
	.globl	_ZN6thrust23THRUST_200600_302600_NS11hip_rocprim14__parallel_for6kernelILj256ENS0_6system3hip6detail17async_for_each_fnINS0_6detail15normal_iteratorINS0_10device_ptrIcEEEE19inplace_divide_by_2EElLj1EEEvT0_T1_SG_
	.p2align	8
	.type	_ZN6thrust23THRUST_200600_302600_NS11hip_rocprim14__parallel_for6kernelILj256ENS0_6system3hip6detail17async_for_each_fnINS0_6detail15normal_iteratorINS0_10device_ptrIcEEEE19inplace_divide_by_2EElLj1EEEvT0_T1_SG_,@function
_ZN6thrust23THRUST_200600_302600_NS11hip_rocprim14__parallel_for6kernelILj256ENS0_6system3hip6detail17async_for_each_fnINS0_6detail15normal_iteratorINS0_10device_ptrIcEEEE19inplace_divide_by_2EElLj1EEEvT0_T1_SG_: ; @_ZN6thrust23THRUST_200600_302600_NS11hip_rocprim14__parallel_for6kernelILj256ENS0_6system3hip6detail17async_for_each_fnINS0_6detail15normal_iteratorINS0_10device_ptrIcEEEE19inplace_divide_by_2EElLj1EEEvT0_T1_SG_
; %bb.0:
	s_load_dwordx4 s[0:3], s[4:5], 0x10
	s_lshl_b32 s6, s6, 8
	v_mov_b32_e32 v1, 0x100
	v_mov_b32_e32 v2, 0
	s_waitcnt lgkmcnt(0)
	s_add_u32 s6, s2, s6
	s_addc_u32 s7, s3, 0
	s_sub_u32 s2, s0, s6
	s_subb_u32 s3, s1, s7
	v_cmp_lt_i64_e32 vcc, s[2:3], v[1:2]
	s_load_dwordx2 s[0:1], s[4:5], 0x0
	s_and_b64 s[4:5], vcc, exec
	s_cselect_b32 s4, s2, 0x100
	s_cmpk_eq_i32 s4, 0x100
	s_mov_b64 s[2:3], -1
	s_cbranch_scc0 .LBB0_3
; %bb.1:
	s_andn2_b64 vcc, exec, s[2:3]
	s_cbranch_vccz .LBB0_6
.LBB0_2:
	s_endpgm
.LBB0_3:
	v_cmp_gt_u32_e32 vcc, s4, v0
	s_and_saveexec_b64 s[2:3], vcc
	s_cbranch_execz .LBB0_5
; %bb.4:
	s_waitcnt lgkmcnt(0)
	s_add_u32 s4, s0, s6
	s_addc_u32 s5, s1, s7
	v_mov_b32_e32 v2, s5
	v_add_co_u32_e32 v1, vcc, s4, v0
	v_addc_co_u32_e32 v2, vcc, 0, v2, vcc
	flat_load_ubyte v3, v[1:2]
	s_waitcnt vmcnt(0) lgkmcnt(0)
	v_lshrrev_b16_e32 v4, 7, v3
	v_add_u16_e32 v3, v3, v4
	v_mov_b32_e32 v4, 1
	v_lshrrev_b16_sdwa v3, v4, sext(v3) dst_sel:DWORD dst_unused:UNUSED_PAD src0_sel:DWORD src1_sel:BYTE_0
	flat_store_byte v[1:2], v3
.LBB0_5:
	s_or_b64 exec, exec, s[2:3]
	s_cbranch_execnz .LBB0_2
.LBB0_6:
	s_waitcnt lgkmcnt(0)
	s_add_u32 s0, s0, s6
	s_addc_u32 s1, s1, s7
	v_mov_b32_e32 v1, s1
	v_add_co_u32_e32 v0, vcc, s0, v0
	v_addc_co_u32_e32 v1, vcc, 0, v1, vcc
	flat_load_ubyte v2, v[0:1]
	s_waitcnt vmcnt(0) lgkmcnt(0)
	v_lshrrev_b16_e32 v3, 7, v2
	v_add_u16_e32 v2, v2, v3
	v_mov_b32_e32 v3, 1
	v_lshrrev_b16_sdwa v2, v3, sext(v2) dst_sel:DWORD dst_unused:UNUSED_PAD src0_sel:DWORD src1_sel:BYTE_0
	flat_store_byte v[0:1], v2
	s_endpgm
	.section	.rodata,"a",@progbits
	.p2align	6, 0x0
	.amdhsa_kernel _ZN6thrust23THRUST_200600_302600_NS11hip_rocprim14__parallel_for6kernelILj256ENS0_6system3hip6detail17async_for_each_fnINS0_6detail15normal_iteratorINS0_10device_ptrIcEEEE19inplace_divide_by_2EElLj1EEEvT0_T1_SG_
		.amdhsa_group_segment_fixed_size 0
		.amdhsa_private_segment_fixed_size 0
		.amdhsa_kernarg_size 32
		.amdhsa_user_sgpr_count 6
		.amdhsa_user_sgpr_private_segment_buffer 1
		.amdhsa_user_sgpr_dispatch_ptr 0
		.amdhsa_user_sgpr_queue_ptr 0
		.amdhsa_user_sgpr_kernarg_segment_ptr 1
		.amdhsa_user_sgpr_dispatch_id 0
		.amdhsa_user_sgpr_flat_scratch_init 0
		.amdhsa_user_sgpr_private_segment_size 0
		.amdhsa_uses_dynamic_stack 0
		.amdhsa_system_sgpr_private_segment_wavefront_offset 0
		.amdhsa_system_sgpr_workgroup_id_x 1
		.amdhsa_system_sgpr_workgroup_id_y 0
		.amdhsa_system_sgpr_workgroup_id_z 0
		.amdhsa_system_sgpr_workgroup_info 0
		.amdhsa_system_vgpr_workitem_id 0
		.amdhsa_next_free_vgpr 5
		.amdhsa_next_free_sgpr 8
		.amdhsa_reserve_vcc 1
		.amdhsa_reserve_flat_scratch 0
		.amdhsa_float_round_mode_32 0
		.amdhsa_float_round_mode_16_64 0
		.amdhsa_float_denorm_mode_32 3
		.amdhsa_float_denorm_mode_16_64 3
		.amdhsa_dx10_clamp 1
		.amdhsa_ieee_mode 1
		.amdhsa_fp16_overflow 0
		.amdhsa_exception_fp_ieee_invalid_op 0
		.amdhsa_exception_fp_denorm_src 0
		.amdhsa_exception_fp_ieee_div_zero 0
		.amdhsa_exception_fp_ieee_overflow 0
		.amdhsa_exception_fp_ieee_underflow 0
		.amdhsa_exception_fp_ieee_inexact 0
		.amdhsa_exception_int_div_zero 0
	.end_amdhsa_kernel
	.section	.text._ZN6thrust23THRUST_200600_302600_NS11hip_rocprim14__parallel_for6kernelILj256ENS0_6system3hip6detail17async_for_each_fnINS0_6detail15normal_iteratorINS0_10device_ptrIcEEEE19inplace_divide_by_2EElLj1EEEvT0_T1_SG_,"axG",@progbits,_ZN6thrust23THRUST_200600_302600_NS11hip_rocprim14__parallel_for6kernelILj256ENS0_6system3hip6detail17async_for_each_fnINS0_6detail15normal_iteratorINS0_10device_ptrIcEEEE19inplace_divide_by_2EElLj1EEEvT0_T1_SG_,comdat
.Lfunc_end0:
	.size	_ZN6thrust23THRUST_200600_302600_NS11hip_rocprim14__parallel_for6kernelILj256ENS0_6system3hip6detail17async_for_each_fnINS0_6detail15normal_iteratorINS0_10device_ptrIcEEEE19inplace_divide_by_2EElLj1EEEvT0_T1_SG_, .Lfunc_end0-_ZN6thrust23THRUST_200600_302600_NS11hip_rocprim14__parallel_for6kernelILj256ENS0_6system3hip6detail17async_for_each_fnINS0_6detail15normal_iteratorINS0_10device_ptrIcEEEE19inplace_divide_by_2EElLj1EEEvT0_T1_SG_
                                        ; -- End function
	.set _ZN6thrust23THRUST_200600_302600_NS11hip_rocprim14__parallel_for6kernelILj256ENS0_6system3hip6detail17async_for_each_fnINS0_6detail15normal_iteratorINS0_10device_ptrIcEEEE19inplace_divide_by_2EElLj1EEEvT0_T1_SG_.num_vgpr, 5
	.set _ZN6thrust23THRUST_200600_302600_NS11hip_rocprim14__parallel_for6kernelILj256ENS0_6system3hip6detail17async_for_each_fnINS0_6detail15normal_iteratorINS0_10device_ptrIcEEEE19inplace_divide_by_2EElLj1EEEvT0_T1_SG_.num_agpr, 0
	.set _ZN6thrust23THRUST_200600_302600_NS11hip_rocprim14__parallel_for6kernelILj256ENS0_6system3hip6detail17async_for_each_fnINS0_6detail15normal_iteratorINS0_10device_ptrIcEEEE19inplace_divide_by_2EElLj1EEEvT0_T1_SG_.numbered_sgpr, 8
	.set _ZN6thrust23THRUST_200600_302600_NS11hip_rocprim14__parallel_for6kernelILj256ENS0_6system3hip6detail17async_for_each_fnINS0_6detail15normal_iteratorINS0_10device_ptrIcEEEE19inplace_divide_by_2EElLj1EEEvT0_T1_SG_.num_named_barrier, 0
	.set _ZN6thrust23THRUST_200600_302600_NS11hip_rocprim14__parallel_for6kernelILj256ENS0_6system3hip6detail17async_for_each_fnINS0_6detail15normal_iteratorINS0_10device_ptrIcEEEE19inplace_divide_by_2EElLj1EEEvT0_T1_SG_.private_seg_size, 0
	.set _ZN6thrust23THRUST_200600_302600_NS11hip_rocprim14__parallel_for6kernelILj256ENS0_6system3hip6detail17async_for_each_fnINS0_6detail15normal_iteratorINS0_10device_ptrIcEEEE19inplace_divide_by_2EElLj1EEEvT0_T1_SG_.uses_vcc, 1
	.set _ZN6thrust23THRUST_200600_302600_NS11hip_rocprim14__parallel_for6kernelILj256ENS0_6system3hip6detail17async_for_each_fnINS0_6detail15normal_iteratorINS0_10device_ptrIcEEEE19inplace_divide_by_2EElLj1EEEvT0_T1_SG_.uses_flat_scratch, 0
	.set _ZN6thrust23THRUST_200600_302600_NS11hip_rocprim14__parallel_for6kernelILj256ENS0_6system3hip6detail17async_for_each_fnINS0_6detail15normal_iteratorINS0_10device_ptrIcEEEE19inplace_divide_by_2EElLj1EEEvT0_T1_SG_.has_dyn_sized_stack, 0
	.set _ZN6thrust23THRUST_200600_302600_NS11hip_rocprim14__parallel_for6kernelILj256ENS0_6system3hip6detail17async_for_each_fnINS0_6detail15normal_iteratorINS0_10device_ptrIcEEEE19inplace_divide_by_2EElLj1EEEvT0_T1_SG_.has_recursion, 0
	.set _ZN6thrust23THRUST_200600_302600_NS11hip_rocprim14__parallel_for6kernelILj256ENS0_6system3hip6detail17async_for_each_fnINS0_6detail15normal_iteratorINS0_10device_ptrIcEEEE19inplace_divide_by_2EElLj1EEEvT0_T1_SG_.has_indirect_call, 0
	.section	.AMDGPU.csdata,"",@progbits
; Kernel info:
; codeLenInByte = 244
; TotalNumSgprs: 12
; NumVgprs: 5
; ScratchSize: 0
; MemoryBound: 0
; FloatMode: 240
; IeeeMode: 1
; LDSByteSize: 0 bytes/workgroup (compile time only)
; SGPRBlocks: 1
; VGPRBlocks: 1
; NumSGPRsForWavesPerEU: 12
; NumVGPRsForWavesPerEU: 5
; Occupancy: 10
; WaveLimiterHint : 0
; COMPUTE_PGM_RSRC2:SCRATCH_EN: 0
; COMPUTE_PGM_RSRC2:USER_SGPR: 6
; COMPUTE_PGM_RSRC2:TRAP_HANDLER: 0
; COMPUTE_PGM_RSRC2:TGID_X_EN: 1
; COMPUTE_PGM_RSRC2:TGID_Y_EN: 0
; COMPUTE_PGM_RSRC2:TGID_Z_EN: 0
; COMPUTE_PGM_RSRC2:TIDIG_COMP_CNT: 0
	.section	.text._ZN6thrust23THRUST_200600_302600_NS11hip_rocprim14__parallel_for6kernelILj256ENS0_6system3hip6detail17async_for_each_fnINS0_6detail15normal_iteratorINS0_10device_ptrIaEEEE19inplace_divide_by_2EElLj1EEEvT0_T1_SG_,"axG",@progbits,_ZN6thrust23THRUST_200600_302600_NS11hip_rocprim14__parallel_for6kernelILj256ENS0_6system3hip6detail17async_for_each_fnINS0_6detail15normal_iteratorINS0_10device_ptrIaEEEE19inplace_divide_by_2EElLj1EEEvT0_T1_SG_,comdat
	.protected	_ZN6thrust23THRUST_200600_302600_NS11hip_rocprim14__parallel_for6kernelILj256ENS0_6system3hip6detail17async_for_each_fnINS0_6detail15normal_iteratorINS0_10device_ptrIaEEEE19inplace_divide_by_2EElLj1EEEvT0_T1_SG_ ; -- Begin function _ZN6thrust23THRUST_200600_302600_NS11hip_rocprim14__parallel_for6kernelILj256ENS0_6system3hip6detail17async_for_each_fnINS0_6detail15normal_iteratorINS0_10device_ptrIaEEEE19inplace_divide_by_2EElLj1EEEvT0_T1_SG_
	.globl	_ZN6thrust23THRUST_200600_302600_NS11hip_rocprim14__parallel_for6kernelILj256ENS0_6system3hip6detail17async_for_each_fnINS0_6detail15normal_iteratorINS0_10device_ptrIaEEEE19inplace_divide_by_2EElLj1EEEvT0_T1_SG_
	.p2align	8
	.type	_ZN6thrust23THRUST_200600_302600_NS11hip_rocprim14__parallel_for6kernelILj256ENS0_6system3hip6detail17async_for_each_fnINS0_6detail15normal_iteratorINS0_10device_ptrIaEEEE19inplace_divide_by_2EElLj1EEEvT0_T1_SG_,@function
_ZN6thrust23THRUST_200600_302600_NS11hip_rocprim14__parallel_for6kernelILj256ENS0_6system3hip6detail17async_for_each_fnINS0_6detail15normal_iteratorINS0_10device_ptrIaEEEE19inplace_divide_by_2EElLj1EEEvT0_T1_SG_: ; @_ZN6thrust23THRUST_200600_302600_NS11hip_rocprim14__parallel_for6kernelILj256ENS0_6system3hip6detail17async_for_each_fnINS0_6detail15normal_iteratorINS0_10device_ptrIaEEEE19inplace_divide_by_2EElLj1EEEvT0_T1_SG_
; %bb.0:
	s_load_dwordx4 s[0:3], s[4:5], 0x10
	s_lshl_b32 s6, s6, 8
	v_mov_b32_e32 v1, 0x100
	v_mov_b32_e32 v2, 0
	s_waitcnt lgkmcnt(0)
	s_add_u32 s6, s2, s6
	s_addc_u32 s7, s3, 0
	s_sub_u32 s2, s0, s6
	s_subb_u32 s3, s1, s7
	v_cmp_lt_i64_e32 vcc, s[2:3], v[1:2]
	s_load_dwordx2 s[0:1], s[4:5], 0x0
	s_and_b64 s[4:5], vcc, exec
	s_cselect_b32 s4, s2, 0x100
	s_cmpk_eq_i32 s4, 0x100
	s_mov_b64 s[2:3], -1
	s_cbranch_scc0 .LBB1_3
; %bb.1:
	s_andn2_b64 vcc, exec, s[2:3]
	s_cbranch_vccz .LBB1_6
.LBB1_2:
	s_endpgm
.LBB1_3:
	v_cmp_gt_u32_e32 vcc, s4, v0
	s_and_saveexec_b64 s[2:3], vcc
	s_cbranch_execz .LBB1_5
; %bb.4:
	s_waitcnt lgkmcnt(0)
	s_add_u32 s4, s0, s6
	s_addc_u32 s5, s1, s7
	v_mov_b32_e32 v2, s5
	v_add_co_u32_e32 v1, vcc, s4, v0
	v_addc_co_u32_e32 v2, vcc, 0, v2, vcc
	flat_load_ubyte v3, v[1:2]
	s_waitcnt vmcnt(0) lgkmcnt(0)
	v_lshrrev_b16_e32 v4, 7, v3
	v_add_u16_e32 v3, v3, v4
	v_mov_b32_e32 v4, 1
	v_lshrrev_b16_sdwa v3, v4, sext(v3) dst_sel:DWORD dst_unused:UNUSED_PAD src0_sel:DWORD src1_sel:BYTE_0
	flat_store_byte v[1:2], v3
.LBB1_5:
	s_or_b64 exec, exec, s[2:3]
	s_cbranch_execnz .LBB1_2
.LBB1_6:
	s_waitcnt lgkmcnt(0)
	s_add_u32 s0, s0, s6
	s_addc_u32 s1, s1, s7
	v_mov_b32_e32 v1, s1
	v_add_co_u32_e32 v0, vcc, s0, v0
	v_addc_co_u32_e32 v1, vcc, 0, v1, vcc
	flat_load_ubyte v2, v[0:1]
	s_waitcnt vmcnt(0) lgkmcnt(0)
	v_lshrrev_b16_e32 v3, 7, v2
	v_add_u16_e32 v2, v2, v3
	v_mov_b32_e32 v3, 1
	v_lshrrev_b16_sdwa v2, v3, sext(v2) dst_sel:DWORD dst_unused:UNUSED_PAD src0_sel:DWORD src1_sel:BYTE_0
	flat_store_byte v[0:1], v2
	s_endpgm
	.section	.rodata,"a",@progbits
	.p2align	6, 0x0
	.amdhsa_kernel _ZN6thrust23THRUST_200600_302600_NS11hip_rocprim14__parallel_for6kernelILj256ENS0_6system3hip6detail17async_for_each_fnINS0_6detail15normal_iteratorINS0_10device_ptrIaEEEE19inplace_divide_by_2EElLj1EEEvT0_T1_SG_
		.amdhsa_group_segment_fixed_size 0
		.amdhsa_private_segment_fixed_size 0
		.amdhsa_kernarg_size 32
		.amdhsa_user_sgpr_count 6
		.amdhsa_user_sgpr_private_segment_buffer 1
		.amdhsa_user_sgpr_dispatch_ptr 0
		.amdhsa_user_sgpr_queue_ptr 0
		.amdhsa_user_sgpr_kernarg_segment_ptr 1
		.amdhsa_user_sgpr_dispatch_id 0
		.amdhsa_user_sgpr_flat_scratch_init 0
		.amdhsa_user_sgpr_private_segment_size 0
		.amdhsa_uses_dynamic_stack 0
		.amdhsa_system_sgpr_private_segment_wavefront_offset 0
		.amdhsa_system_sgpr_workgroup_id_x 1
		.amdhsa_system_sgpr_workgroup_id_y 0
		.amdhsa_system_sgpr_workgroup_id_z 0
		.amdhsa_system_sgpr_workgroup_info 0
		.amdhsa_system_vgpr_workitem_id 0
		.amdhsa_next_free_vgpr 5
		.amdhsa_next_free_sgpr 8
		.amdhsa_reserve_vcc 1
		.amdhsa_reserve_flat_scratch 0
		.amdhsa_float_round_mode_32 0
		.amdhsa_float_round_mode_16_64 0
		.amdhsa_float_denorm_mode_32 3
		.amdhsa_float_denorm_mode_16_64 3
		.amdhsa_dx10_clamp 1
		.amdhsa_ieee_mode 1
		.amdhsa_fp16_overflow 0
		.amdhsa_exception_fp_ieee_invalid_op 0
		.amdhsa_exception_fp_denorm_src 0
		.amdhsa_exception_fp_ieee_div_zero 0
		.amdhsa_exception_fp_ieee_overflow 0
		.amdhsa_exception_fp_ieee_underflow 0
		.amdhsa_exception_fp_ieee_inexact 0
		.amdhsa_exception_int_div_zero 0
	.end_amdhsa_kernel
	.section	.text._ZN6thrust23THRUST_200600_302600_NS11hip_rocprim14__parallel_for6kernelILj256ENS0_6system3hip6detail17async_for_each_fnINS0_6detail15normal_iteratorINS0_10device_ptrIaEEEE19inplace_divide_by_2EElLj1EEEvT0_T1_SG_,"axG",@progbits,_ZN6thrust23THRUST_200600_302600_NS11hip_rocprim14__parallel_for6kernelILj256ENS0_6system3hip6detail17async_for_each_fnINS0_6detail15normal_iteratorINS0_10device_ptrIaEEEE19inplace_divide_by_2EElLj1EEEvT0_T1_SG_,comdat
.Lfunc_end1:
	.size	_ZN6thrust23THRUST_200600_302600_NS11hip_rocprim14__parallel_for6kernelILj256ENS0_6system3hip6detail17async_for_each_fnINS0_6detail15normal_iteratorINS0_10device_ptrIaEEEE19inplace_divide_by_2EElLj1EEEvT0_T1_SG_, .Lfunc_end1-_ZN6thrust23THRUST_200600_302600_NS11hip_rocprim14__parallel_for6kernelILj256ENS0_6system3hip6detail17async_for_each_fnINS0_6detail15normal_iteratorINS0_10device_ptrIaEEEE19inplace_divide_by_2EElLj1EEEvT0_T1_SG_
                                        ; -- End function
	.set _ZN6thrust23THRUST_200600_302600_NS11hip_rocprim14__parallel_for6kernelILj256ENS0_6system3hip6detail17async_for_each_fnINS0_6detail15normal_iteratorINS0_10device_ptrIaEEEE19inplace_divide_by_2EElLj1EEEvT0_T1_SG_.num_vgpr, 5
	.set _ZN6thrust23THRUST_200600_302600_NS11hip_rocprim14__parallel_for6kernelILj256ENS0_6system3hip6detail17async_for_each_fnINS0_6detail15normal_iteratorINS0_10device_ptrIaEEEE19inplace_divide_by_2EElLj1EEEvT0_T1_SG_.num_agpr, 0
	.set _ZN6thrust23THRUST_200600_302600_NS11hip_rocprim14__parallel_for6kernelILj256ENS0_6system3hip6detail17async_for_each_fnINS0_6detail15normal_iteratorINS0_10device_ptrIaEEEE19inplace_divide_by_2EElLj1EEEvT0_T1_SG_.numbered_sgpr, 8
	.set _ZN6thrust23THRUST_200600_302600_NS11hip_rocprim14__parallel_for6kernelILj256ENS0_6system3hip6detail17async_for_each_fnINS0_6detail15normal_iteratorINS0_10device_ptrIaEEEE19inplace_divide_by_2EElLj1EEEvT0_T1_SG_.num_named_barrier, 0
	.set _ZN6thrust23THRUST_200600_302600_NS11hip_rocprim14__parallel_for6kernelILj256ENS0_6system3hip6detail17async_for_each_fnINS0_6detail15normal_iteratorINS0_10device_ptrIaEEEE19inplace_divide_by_2EElLj1EEEvT0_T1_SG_.private_seg_size, 0
	.set _ZN6thrust23THRUST_200600_302600_NS11hip_rocprim14__parallel_for6kernelILj256ENS0_6system3hip6detail17async_for_each_fnINS0_6detail15normal_iteratorINS0_10device_ptrIaEEEE19inplace_divide_by_2EElLj1EEEvT0_T1_SG_.uses_vcc, 1
	.set _ZN6thrust23THRUST_200600_302600_NS11hip_rocprim14__parallel_for6kernelILj256ENS0_6system3hip6detail17async_for_each_fnINS0_6detail15normal_iteratorINS0_10device_ptrIaEEEE19inplace_divide_by_2EElLj1EEEvT0_T1_SG_.uses_flat_scratch, 0
	.set _ZN6thrust23THRUST_200600_302600_NS11hip_rocprim14__parallel_for6kernelILj256ENS0_6system3hip6detail17async_for_each_fnINS0_6detail15normal_iteratorINS0_10device_ptrIaEEEE19inplace_divide_by_2EElLj1EEEvT0_T1_SG_.has_dyn_sized_stack, 0
	.set _ZN6thrust23THRUST_200600_302600_NS11hip_rocprim14__parallel_for6kernelILj256ENS0_6system3hip6detail17async_for_each_fnINS0_6detail15normal_iteratorINS0_10device_ptrIaEEEE19inplace_divide_by_2EElLj1EEEvT0_T1_SG_.has_recursion, 0
	.set _ZN6thrust23THRUST_200600_302600_NS11hip_rocprim14__parallel_for6kernelILj256ENS0_6system3hip6detail17async_for_each_fnINS0_6detail15normal_iteratorINS0_10device_ptrIaEEEE19inplace_divide_by_2EElLj1EEEvT0_T1_SG_.has_indirect_call, 0
	.section	.AMDGPU.csdata,"",@progbits
; Kernel info:
; codeLenInByte = 244
; TotalNumSgprs: 12
; NumVgprs: 5
; ScratchSize: 0
; MemoryBound: 0
; FloatMode: 240
; IeeeMode: 1
; LDSByteSize: 0 bytes/workgroup (compile time only)
; SGPRBlocks: 1
; VGPRBlocks: 1
; NumSGPRsForWavesPerEU: 12
; NumVGPRsForWavesPerEU: 5
; Occupancy: 10
; WaveLimiterHint : 0
; COMPUTE_PGM_RSRC2:SCRATCH_EN: 0
; COMPUTE_PGM_RSRC2:USER_SGPR: 6
; COMPUTE_PGM_RSRC2:TRAP_HANDLER: 0
; COMPUTE_PGM_RSRC2:TGID_X_EN: 1
; COMPUTE_PGM_RSRC2:TGID_Y_EN: 0
; COMPUTE_PGM_RSRC2:TGID_Z_EN: 0
; COMPUTE_PGM_RSRC2:TIDIG_COMP_CNT: 0
	.section	.text._ZN6thrust23THRUST_200600_302600_NS11hip_rocprim14__parallel_for6kernelILj256ENS0_6system3hip6detail17async_for_each_fnINS0_6detail15normal_iteratorINS0_10device_ptrIhEEEE19inplace_divide_by_2EElLj1EEEvT0_T1_SG_,"axG",@progbits,_ZN6thrust23THRUST_200600_302600_NS11hip_rocprim14__parallel_for6kernelILj256ENS0_6system3hip6detail17async_for_each_fnINS0_6detail15normal_iteratorINS0_10device_ptrIhEEEE19inplace_divide_by_2EElLj1EEEvT0_T1_SG_,comdat
	.protected	_ZN6thrust23THRUST_200600_302600_NS11hip_rocprim14__parallel_for6kernelILj256ENS0_6system3hip6detail17async_for_each_fnINS0_6detail15normal_iteratorINS0_10device_ptrIhEEEE19inplace_divide_by_2EElLj1EEEvT0_T1_SG_ ; -- Begin function _ZN6thrust23THRUST_200600_302600_NS11hip_rocprim14__parallel_for6kernelILj256ENS0_6system3hip6detail17async_for_each_fnINS0_6detail15normal_iteratorINS0_10device_ptrIhEEEE19inplace_divide_by_2EElLj1EEEvT0_T1_SG_
	.globl	_ZN6thrust23THRUST_200600_302600_NS11hip_rocprim14__parallel_for6kernelILj256ENS0_6system3hip6detail17async_for_each_fnINS0_6detail15normal_iteratorINS0_10device_ptrIhEEEE19inplace_divide_by_2EElLj1EEEvT0_T1_SG_
	.p2align	8
	.type	_ZN6thrust23THRUST_200600_302600_NS11hip_rocprim14__parallel_for6kernelILj256ENS0_6system3hip6detail17async_for_each_fnINS0_6detail15normal_iteratorINS0_10device_ptrIhEEEE19inplace_divide_by_2EElLj1EEEvT0_T1_SG_,@function
_ZN6thrust23THRUST_200600_302600_NS11hip_rocprim14__parallel_for6kernelILj256ENS0_6system3hip6detail17async_for_each_fnINS0_6detail15normal_iteratorINS0_10device_ptrIhEEEE19inplace_divide_by_2EElLj1EEEvT0_T1_SG_: ; @_ZN6thrust23THRUST_200600_302600_NS11hip_rocprim14__parallel_for6kernelILj256ENS0_6system3hip6detail17async_for_each_fnINS0_6detail15normal_iteratorINS0_10device_ptrIhEEEE19inplace_divide_by_2EElLj1EEEvT0_T1_SG_
; %bb.0:
	s_load_dwordx4 s[0:3], s[4:5], 0x10
	s_lshl_b32 s6, s6, 8
	v_mov_b32_e32 v1, 0x100
	v_mov_b32_e32 v2, 0
	s_waitcnt lgkmcnt(0)
	s_add_u32 s6, s2, s6
	s_addc_u32 s7, s3, 0
	s_sub_u32 s2, s0, s6
	s_subb_u32 s3, s1, s7
	v_cmp_lt_i64_e32 vcc, s[2:3], v[1:2]
	s_load_dwordx2 s[0:1], s[4:5], 0x0
	s_and_b64 s[4:5], vcc, exec
	s_cselect_b32 s4, s2, 0x100
	s_cmpk_eq_i32 s4, 0x100
	s_mov_b64 s[2:3], -1
	s_cbranch_scc0 .LBB2_3
; %bb.1:
	s_andn2_b64 vcc, exec, s[2:3]
	s_cbranch_vccz .LBB2_6
.LBB2_2:
	s_endpgm
.LBB2_3:
	v_cmp_gt_u32_e32 vcc, s4, v0
	s_and_saveexec_b64 s[2:3], vcc
	s_cbranch_execz .LBB2_5
; %bb.4:
	s_waitcnt lgkmcnt(0)
	s_add_u32 s4, s0, s6
	s_addc_u32 s5, s1, s7
	v_mov_b32_e32 v2, s5
	v_add_co_u32_e32 v1, vcc, s4, v0
	v_addc_co_u32_e32 v2, vcc, 0, v2, vcc
	flat_load_ubyte v3, v[1:2]
	s_waitcnt vmcnt(0) lgkmcnt(0)
	v_lshrrev_b16_e32 v3, 1, v3
	flat_store_byte v[1:2], v3
.LBB2_5:
	s_or_b64 exec, exec, s[2:3]
	s_cbranch_execnz .LBB2_2
.LBB2_6:
	s_waitcnt lgkmcnt(0)
	s_add_u32 s0, s0, s6
	s_addc_u32 s1, s1, s7
	v_mov_b32_e32 v1, s1
	v_add_co_u32_e32 v0, vcc, s0, v0
	v_addc_co_u32_e32 v1, vcc, 0, v1, vcc
	flat_load_ubyte v2, v[0:1]
	s_waitcnt vmcnt(0) lgkmcnt(0)
	v_lshrrev_b16_e32 v2, 1, v2
	flat_store_byte v[0:1], v2
	s_endpgm
	.section	.rodata,"a",@progbits
	.p2align	6, 0x0
	.amdhsa_kernel _ZN6thrust23THRUST_200600_302600_NS11hip_rocprim14__parallel_for6kernelILj256ENS0_6system3hip6detail17async_for_each_fnINS0_6detail15normal_iteratorINS0_10device_ptrIhEEEE19inplace_divide_by_2EElLj1EEEvT0_T1_SG_
		.amdhsa_group_segment_fixed_size 0
		.amdhsa_private_segment_fixed_size 0
		.amdhsa_kernarg_size 32
		.amdhsa_user_sgpr_count 6
		.amdhsa_user_sgpr_private_segment_buffer 1
		.amdhsa_user_sgpr_dispatch_ptr 0
		.amdhsa_user_sgpr_queue_ptr 0
		.amdhsa_user_sgpr_kernarg_segment_ptr 1
		.amdhsa_user_sgpr_dispatch_id 0
		.amdhsa_user_sgpr_flat_scratch_init 0
		.amdhsa_user_sgpr_private_segment_size 0
		.amdhsa_uses_dynamic_stack 0
		.amdhsa_system_sgpr_private_segment_wavefront_offset 0
		.amdhsa_system_sgpr_workgroup_id_x 1
		.amdhsa_system_sgpr_workgroup_id_y 0
		.amdhsa_system_sgpr_workgroup_id_z 0
		.amdhsa_system_sgpr_workgroup_info 0
		.amdhsa_system_vgpr_workitem_id 0
		.amdhsa_next_free_vgpr 4
		.amdhsa_next_free_sgpr 8
		.amdhsa_reserve_vcc 1
		.amdhsa_reserve_flat_scratch 0
		.amdhsa_float_round_mode_32 0
		.amdhsa_float_round_mode_16_64 0
		.amdhsa_float_denorm_mode_32 3
		.amdhsa_float_denorm_mode_16_64 3
		.amdhsa_dx10_clamp 1
		.amdhsa_ieee_mode 1
		.amdhsa_fp16_overflow 0
		.amdhsa_exception_fp_ieee_invalid_op 0
		.amdhsa_exception_fp_denorm_src 0
		.amdhsa_exception_fp_ieee_div_zero 0
		.amdhsa_exception_fp_ieee_overflow 0
		.amdhsa_exception_fp_ieee_underflow 0
		.amdhsa_exception_fp_ieee_inexact 0
		.amdhsa_exception_int_div_zero 0
	.end_amdhsa_kernel
	.section	.text._ZN6thrust23THRUST_200600_302600_NS11hip_rocprim14__parallel_for6kernelILj256ENS0_6system3hip6detail17async_for_each_fnINS0_6detail15normal_iteratorINS0_10device_ptrIhEEEE19inplace_divide_by_2EElLj1EEEvT0_T1_SG_,"axG",@progbits,_ZN6thrust23THRUST_200600_302600_NS11hip_rocprim14__parallel_for6kernelILj256ENS0_6system3hip6detail17async_for_each_fnINS0_6detail15normal_iteratorINS0_10device_ptrIhEEEE19inplace_divide_by_2EElLj1EEEvT0_T1_SG_,comdat
.Lfunc_end2:
	.size	_ZN6thrust23THRUST_200600_302600_NS11hip_rocprim14__parallel_for6kernelILj256ENS0_6system3hip6detail17async_for_each_fnINS0_6detail15normal_iteratorINS0_10device_ptrIhEEEE19inplace_divide_by_2EElLj1EEEvT0_T1_SG_, .Lfunc_end2-_ZN6thrust23THRUST_200600_302600_NS11hip_rocprim14__parallel_for6kernelILj256ENS0_6system3hip6detail17async_for_each_fnINS0_6detail15normal_iteratorINS0_10device_ptrIhEEEE19inplace_divide_by_2EElLj1EEEvT0_T1_SG_
                                        ; -- End function
	.set _ZN6thrust23THRUST_200600_302600_NS11hip_rocprim14__parallel_for6kernelILj256ENS0_6system3hip6detail17async_for_each_fnINS0_6detail15normal_iteratorINS0_10device_ptrIhEEEE19inplace_divide_by_2EElLj1EEEvT0_T1_SG_.num_vgpr, 4
	.set _ZN6thrust23THRUST_200600_302600_NS11hip_rocprim14__parallel_for6kernelILj256ENS0_6system3hip6detail17async_for_each_fnINS0_6detail15normal_iteratorINS0_10device_ptrIhEEEE19inplace_divide_by_2EElLj1EEEvT0_T1_SG_.num_agpr, 0
	.set _ZN6thrust23THRUST_200600_302600_NS11hip_rocprim14__parallel_for6kernelILj256ENS0_6system3hip6detail17async_for_each_fnINS0_6detail15normal_iteratorINS0_10device_ptrIhEEEE19inplace_divide_by_2EElLj1EEEvT0_T1_SG_.numbered_sgpr, 8
	.set _ZN6thrust23THRUST_200600_302600_NS11hip_rocprim14__parallel_for6kernelILj256ENS0_6system3hip6detail17async_for_each_fnINS0_6detail15normal_iteratorINS0_10device_ptrIhEEEE19inplace_divide_by_2EElLj1EEEvT0_T1_SG_.num_named_barrier, 0
	.set _ZN6thrust23THRUST_200600_302600_NS11hip_rocprim14__parallel_for6kernelILj256ENS0_6system3hip6detail17async_for_each_fnINS0_6detail15normal_iteratorINS0_10device_ptrIhEEEE19inplace_divide_by_2EElLj1EEEvT0_T1_SG_.private_seg_size, 0
	.set _ZN6thrust23THRUST_200600_302600_NS11hip_rocprim14__parallel_for6kernelILj256ENS0_6system3hip6detail17async_for_each_fnINS0_6detail15normal_iteratorINS0_10device_ptrIhEEEE19inplace_divide_by_2EElLj1EEEvT0_T1_SG_.uses_vcc, 1
	.set _ZN6thrust23THRUST_200600_302600_NS11hip_rocprim14__parallel_for6kernelILj256ENS0_6system3hip6detail17async_for_each_fnINS0_6detail15normal_iteratorINS0_10device_ptrIhEEEE19inplace_divide_by_2EElLj1EEEvT0_T1_SG_.uses_flat_scratch, 0
	.set _ZN6thrust23THRUST_200600_302600_NS11hip_rocprim14__parallel_for6kernelILj256ENS0_6system3hip6detail17async_for_each_fnINS0_6detail15normal_iteratorINS0_10device_ptrIhEEEE19inplace_divide_by_2EElLj1EEEvT0_T1_SG_.has_dyn_sized_stack, 0
	.set _ZN6thrust23THRUST_200600_302600_NS11hip_rocprim14__parallel_for6kernelILj256ENS0_6system3hip6detail17async_for_each_fnINS0_6detail15normal_iteratorINS0_10device_ptrIhEEEE19inplace_divide_by_2EElLj1EEEvT0_T1_SG_.has_recursion, 0
	.set _ZN6thrust23THRUST_200600_302600_NS11hip_rocprim14__parallel_for6kernelILj256ENS0_6system3hip6detail17async_for_each_fnINS0_6detail15normal_iteratorINS0_10device_ptrIhEEEE19inplace_divide_by_2EElLj1EEEvT0_T1_SG_.has_indirect_call, 0
	.section	.AMDGPU.csdata,"",@progbits
; Kernel info:
; codeLenInByte = 212
; TotalNumSgprs: 12
; NumVgprs: 4
; ScratchSize: 0
; MemoryBound: 0
; FloatMode: 240
; IeeeMode: 1
; LDSByteSize: 0 bytes/workgroup (compile time only)
; SGPRBlocks: 1
; VGPRBlocks: 0
; NumSGPRsForWavesPerEU: 12
; NumVGPRsForWavesPerEU: 4
; Occupancy: 10
; WaveLimiterHint : 0
; COMPUTE_PGM_RSRC2:SCRATCH_EN: 0
; COMPUTE_PGM_RSRC2:USER_SGPR: 6
; COMPUTE_PGM_RSRC2:TRAP_HANDLER: 0
; COMPUTE_PGM_RSRC2:TGID_X_EN: 1
; COMPUTE_PGM_RSRC2:TGID_Y_EN: 0
; COMPUTE_PGM_RSRC2:TGID_Z_EN: 0
; COMPUTE_PGM_RSRC2:TIDIG_COMP_CNT: 0
	.section	.text._ZN6thrust23THRUST_200600_302600_NS11hip_rocprim14__parallel_for6kernelILj256ENS0_6system3hip6detail17async_for_each_fnINS0_6detail15normal_iteratorINS0_10device_ptrIsEEEE19inplace_divide_by_2EElLj1EEEvT0_T1_SG_,"axG",@progbits,_ZN6thrust23THRUST_200600_302600_NS11hip_rocprim14__parallel_for6kernelILj256ENS0_6system3hip6detail17async_for_each_fnINS0_6detail15normal_iteratorINS0_10device_ptrIsEEEE19inplace_divide_by_2EElLj1EEEvT0_T1_SG_,comdat
	.protected	_ZN6thrust23THRUST_200600_302600_NS11hip_rocprim14__parallel_for6kernelILj256ENS0_6system3hip6detail17async_for_each_fnINS0_6detail15normal_iteratorINS0_10device_ptrIsEEEE19inplace_divide_by_2EElLj1EEEvT0_T1_SG_ ; -- Begin function _ZN6thrust23THRUST_200600_302600_NS11hip_rocprim14__parallel_for6kernelILj256ENS0_6system3hip6detail17async_for_each_fnINS0_6detail15normal_iteratorINS0_10device_ptrIsEEEE19inplace_divide_by_2EElLj1EEEvT0_T1_SG_
	.globl	_ZN6thrust23THRUST_200600_302600_NS11hip_rocprim14__parallel_for6kernelILj256ENS0_6system3hip6detail17async_for_each_fnINS0_6detail15normal_iteratorINS0_10device_ptrIsEEEE19inplace_divide_by_2EElLj1EEEvT0_T1_SG_
	.p2align	8
	.type	_ZN6thrust23THRUST_200600_302600_NS11hip_rocprim14__parallel_for6kernelILj256ENS0_6system3hip6detail17async_for_each_fnINS0_6detail15normal_iteratorINS0_10device_ptrIsEEEE19inplace_divide_by_2EElLj1EEEvT0_T1_SG_,@function
_ZN6thrust23THRUST_200600_302600_NS11hip_rocprim14__parallel_for6kernelILj256ENS0_6system3hip6detail17async_for_each_fnINS0_6detail15normal_iteratorINS0_10device_ptrIsEEEE19inplace_divide_by_2EElLj1EEEvT0_T1_SG_: ; @_ZN6thrust23THRUST_200600_302600_NS11hip_rocprim14__parallel_for6kernelILj256ENS0_6system3hip6detail17async_for_each_fnINS0_6detail15normal_iteratorINS0_10device_ptrIsEEEE19inplace_divide_by_2EElLj1EEEvT0_T1_SG_
; %bb.0:
	s_load_dwordx4 s[8:11], s[4:5], 0x10
	s_load_dwordx2 s[2:3], s[4:5], 0x0
	s_lshl_b32 s0, s6, 8
	v_mov_b32_e32 v1, 0x100
	v_mov_b32_e32 v2, 0
	s_waitcnt lgkmcnt(0)
	s_add_u32 s0, s10, s0
	s_addc_u32 s1, s11, 0
	s_sub_u32 s6, s8, s0
	s_subb_u32 s7, s9, s1
	v_cmp_lt_i64_e32 vcc, s[6:7], v[1:2]
	s_and_b64 s[4:5], vcc, exec
	s_cselect_b32 s6, s6, 0x100
	s_cmpk_eq_i32 s6, 0x100
	s_mov_b64 s[4:5], -1
	s_cbranch_scc0 .LBB3_3
; %bb.1:
	s_andn2_b64 vcc, exec, s[4:5]
	s_cbranch_vccz .LBB3_6
.LBB3_2:
	s_endpgm
.LBB3_3:
	v_cmp_gt_u32_e32 vcc, s6, v0
	s_and_saveexec_b64 s[4:5], vcc
	s_cbranch_execz .LBB3_5
; %bb.4:
	s_lshl_b64 s[6:7], s[0:1], 1
	s_add_u32 s6, s2, s6
	s_addc_u32 s7, s3, s7
	v_lshlrev_b32_e32 v1, 1, v0
	v_mov_b32_e32 v2, s7
	v_add_co_u32_e32 v1, vcc, s6, v1
	v_addc_co_u32_e32 v2, vcc, 0, v2, vcc
	flat_load_ushort v3, v[1:2]
	s_waitcnt vmcnt(0) lgkmcnt(0)
	v_lshrrev_b16_e32 v4, 15, v3
	v_add_u16_e32 v3, v3, v4
	v_ashrrev_i16_e32 v3, 1, v3
	flat_store_short v[1:2], v3
.LBB3_5:
	s_or_b64 exec, exec, s[4:5]
	s_cbranch_execnz .LBB3_2
.LBB3_6:
	s_lshl_b64 s[0:1], s[0:1], 1
	s_add_u32 s0, s2, s0
	s_addc_u32 s1, s3, s1
	v_lshlrev_b32_e32 v0, 1, v0
	v_mov_b32_e32 v1, s1
	v_add_co_u32_e32 v0, vcc, s0, v0
	v_addc_co_u32_e32 v1, vcc, 0, v1, vcc
	flat_load_ushort v2, v[0:1]
	s_waitcnt vmcnt(0) lgkmcnt(0)
	v_lshrrev_b16_e32 v3, 15, v2
	v_add_u16_e32 v2, v2, v3
	v_ashrrev_i16_e32 v2, 1, v2
	flat_store_short v[0:1], v2
	s_endpgm
	.section	.rodata,"a",@progbits
	.p2align	6, 0x0
	.amdhsa_kernel _ZN6thrust23THRUST_200600_302600_NS11hip_rocprim14__parallel_for6kernelILj256ENS0_6system3hip6detail17async_for_each_fnINS0_6detail15normal_iteratorINS0_10device_ptrIsEEEE19inplace_divide_by_2EElLj1EEEvT0_T1_SG_
		.amdhsa_group_segment_fixed_size 0
		.amdhsa_private_segment_fixed_size 0
		.amdhsa_kernarg_size 32
		.amdhsa_user_sgpr_count 6
		.amdhsa_user_sgpr_private_segment_buffer 1
		.amdhsa_user_sgpr_dispatch_ptr 0
		.amdhsa_user_sgpr_queue_ptr 0
		.amdhsa_user_sgpr_kernarg_segment_ptr 1
		.amdhsa_user_sgpr_dispatch_id 0
		.amdhsa_user_sgpr_flat_scratch_init 0
		.amdhsa_user_sgpr_private_segment_size 0
		.amdhsa_uses_dynamic_stack 0
		.amdhsa_system_sgpr_private_segment_wavefront_offset 0
		.amdhsa_system_sgpr_workgroup_id_x 1
		.amdhsa_system_sgpr_workgroup_id_y 0
		.amdhsa_system_sgpr_workgroup_id_z 0
		.amdhsa_system_sgpr_workgroup_info 0
		.amdhsa_system_vgpr_workitem_id 0
		.amdhsa_next_free_vgpr 5
		.amdhsa_next_free_sgpr 12
		.amdhsa_reserve_vcc 1
		.amdhsa_reserve_flat_scratch 0
		.amdhsa_float_round_mode_32 0
		.amdhsa_float_round_mode_16_64 0
		.amdhsa_float_denorm_mode_32 3
		.amdhsa_float_denorm_mode_16_64 3
		.amdhsa_dx10_clamp 1
		.amdhsa_ieee_mode 1
		.amdhsa_fp16_overflow 0
		.amdhsa_exception_fp_ieee_invalid_op 0
		.amdhsa_exception_fp_denorm_src 0
		.amdhsa_exception_fp_ieee_div_zero 0
		.amdhsa_exception_fp_ieee_overflow 0
		.amdhsa_exception_fp_ieee_underflow 0
		.amdhsa_exception_fp_ieee_inexact 0
		.amdhsa_exception_int_div_zero 0
	.end_amdhsa_kernel
	.section	.text._ZN6thrust23THRUST_200600_302600_NS11hip_rocprim14__parallel_for6kernelILj256ENS0_6system3hip6detail17async_for_each_fnINS0_6detail15normal_iteratorINS0_10device_ptrIsEEEE19inplace_divide_by_2EElLj1EEEvT0_T1_SG_,"axG",@progbits,_ZN6thrust23THRUST_200600_302600_NS11hip_rocprim14__parallel_for6kernelILj256ENS0_6system3hip6detail17async_for_each_fnINS0_6detail15normal_iteratorINS0_10device_ptrIsEEEE19inplace_divide_by_2EElLj1EEEvT0_T1_SG_,comdat
.Lfunc_end3:
	.size	_ZN6thrust23THRUST_200600_302600_NS11hip_rocprim14__parallel_for6kernelILj256ENS0_6system3hip6detail17async_for_each_fnINS0_6detail15normal_iteratorINS0_10device_ptrIsEEEE19inplace_divide_by_2EElLj1EEEvT0_T1_SG_, .Lfunc_end3-_ZN6thrust23THRUST_200600_302600_NS11hip_rocprim14__parallel_for6kernelILj256ENS0_6system3hip6detail17async_for_each_fnINS0_6detail15normal_iteratorINS0_10device_ptrIsEEEE19inplace_divide_by_2EElLj1EEEvT0_T1_SG_
                                        ; -- End function
	.set _ZN6thrust23THRUST_200600_302600_NS11hip_rocprim14__parallel_for6kernelILj256ENS0_6system3hip6detail17async_for_each_fnINS0_6detail15normal_iteratorINS0_10device_ptrIsEEEE19inplace_divide_by_2EElLj1EEEvT0_T1_SG_.num_vgpr, 5
	.set _ZN6thrust23THRUST_200600_302600_NS11hip_rocprim14__parallel_for6kernelILj256ENS0_6system3hip6detail17async_for_each_fnINS0_6detail15normal_iteratorINS0_10device_ptrIsEEEE19inplace_divide_by_2EElLj1EEEvT0_T1_SG_.num_agpr, 0
	.set _ZN6thrust23THRUST_200600_302600_NS11hip_rocprim14__parallel_for6kernelILj256ENS0_6system3hip6detail17async_for_each_fnINS0_6detail15normal_iteratorINS0_10device_ptrIsEEEE19inplace_divide_by_2EElLj1EEEvT0_T1_SG_.numbered_sgpr, 12
	.set _ZN6thrust23THRUST_200600_302600_NS11hip_rocprim14__parallel_for6kernelILj256ENS0_6system3hip6detail17async_for_each_fnINS0_6detail15normal_iteratorINS0_10device_ptrIsEEEE19inplace_divide_by_2EElLj1EEEvT0_T1_SG_.num_named_barrier, 0
	.set _ZN6thrust23THRUST_200600_302600_NS11hip_rocprim14__parallel_for6kernelILj256ENS0_6system3hip6detail17async_for_each_fnINS0_6detail15normal_iteratorINS0_10device_ptrIsEEEE19inplace_divide_by_2EElLj1EEEvT0_T1_SG_.private_seg_size, 0
	.set _ZN6thrust23THRUST_200600_302600_NS11hip_rocprim14__parallel_for6kernelILj256ENS0_6system3hip6detail17async_for_each_fnINS0_6detail15normal_iteratorINS0_10device_ptrIsEEEE19inplace_divide_by_2EElLj1EEEvT0_T1_SG_.uses_vcc, 1
	.set _ZN6thrust23THRUST_200600_302600_NS11hip_rocprim14__parallel_for6kernelILj256ENS0_6system3hip6detail17async_for_each_fnINS0_6detail15normal_iteratorINS0_10device_ptrIsEEEE19inplace_divide_by_2EElLj1EEEvT0_T1_SG_.uses_flat_scratch, 0
	.set _ZN6thrust23THRUST_200600_302600_NS11hip_rocprim14__parallel_for6kernelILj256ENS0_6system3hip6detail17async_for_each_fnINS0_6detail15normal_iteratorINS0_10device_ptrIsEEEE19inplace_divide_by_2EElLj1EEEvT0_T1_SG_.has_dyn_sized_stack, 0
	.set _ZN6thrust23THRUST_200600_302600_NS11hip_rocprim14__parallel_for6kernelILj256ENS0_6system3hip6detail17async_for_each_fnINS0_6detail15normal_iteratorINS0_10device_ptrIsEEEE19inplace_divide_by_2EElLj1EEEvT0_T1_SG_.has_recursion, 0
	.set _ZN6thrust23THRUST_200600_302600_NS11hip_rocprim14__parallel_for6kernelILj256ENS0_6system3hip6detail17async_for_each_fnINS0_6detail15normal_iteratorINS0_10device_ptrIsEEEE19inplace_divide_by_2EElLj1EEEvT0_T1_SG_.has_indirect_call, 0
	.section	.AMDGPU.csdata,"",@progbits
; Kernel info:
; codeLenInByte = 236
; TotalNumSgprs: 16
; NumVgprs: 5
; ScratchSize: 0
; MemoryBound: 0
; FloatMode: 240
; IeeeMode: 1
; LDSByteSize: 0 bytes/workgroup (compile time only)
; SGPRBlocks: 1
; VGPRBlocks: 1
; NumSGPRsForWavesPerEU: 16
; NumVGPRsForWavesPerEU: 5
; Occupancy: 10
; WaveLimiterHint : 0
; COMPUTE_PGM_RSRC2:SCRATCH_EN: 0
; COMPUTE_PGM_RSRC2:USER_SGPR: 6
; COMPUTE_PGM_RSRC2:TRAP_HANDLER: 0
; COMPUTE_PGM_RSRC2:TGID_X_EN: 1
; COMPUTE_PGM_RSRC2:TGID_Y_EN: 0
; COMPUTE_PGM_RSRC2:TGID_Z_EN: 0
; COMPUTE_PGM_RSRC2:TIDIG_COMP_CNT: 0
	.section	.text._ZN6thrust23THRUST_200600_302600_NS11hip_rocprim14__parallel_for6kernelILj256ENS0_6system3hip6detail17async_for_each_fnINS0_6detail15normal_iteratorINS0_10device_ptrItEEEE19inplace_divide_by_2EElLj1EEEvT0_T1_SG_,"axG",@progbits,_ZN6thrust23THRUST_200600_302600_NS11hip_rocprim14__parallel_for6kernelILj256ENS0_6system3hip6detail17async_for_each_fnINS0_6detail15normal_iteratorINS0_10device_ptrItEEEE19inplace_divide_by_2EElLj1EEEvT0_T1_SG_,comdat
	.protected	_ZN6thrust23THRUST_200600_302600_NS11hip_rocprim14__parallel_for6kernelILj256ENS0_6system3hip6detail17async_for_each_fnINS0_6detail15normal_iteratorINS0_10device_ptrItEEEE19inplace_divide_by_2EElLj1EEEvT0_T1_SG_ ; -- Begin function _ZN6thrust23THRUST_200600_302600_NS11hip_rocprim14__parallel_for6kernelILj256ENS0_6system3hip6detail17async_for_each_fnINS0_6detail15normal_iteratorINS0_10device_ptrItEEEE19inplace_divide_by_2EElLj1EEEvT0_T1_SG_
	.globl	_ZN6thrust23THRUST_200600_302600_NS11hip_rocprim14__parallel_for6kernelILj256ENS0_6system3hip6detail17async_for_each_fnINS0_6detail15normal_iteratorINS0_10device_ptrItEEEE19inplace_divide_by_2EElLj1EEEvT0_T1_SG_
	.p2align	8
	.type	_ZN6thrust23THRUST_200600_302600_NS11hip_rocprim14__parallel_for6kernelILj256ENS0_6system3hip6detail17async_for_each_fnINS0_6detail15normal_iteratorINS0_10device_ptrItEEEE19inplace_divide_by_2EElLj1EEEvT0_T1_SG_,@function
_ZN6thrust23THRUST_200600_302600_NS11hip_rocprim14__parallel_for6kernelILj256ENS0_6system3hip6detail17async_for_each_fnINS0_6detail15normal_iteratorINS0_10device_ptrItEEEE19inplace_divide_by_2EElLj1EEEvT0_T1_SG_: ; @_ZN6thrust23THRUST_200600_302600_NS11hip_rocprim14__parallel_for6kernelILj256ENS0_6system3hip6detail17async_for_each_fnINS0_6detail15normal_iteratorINS0_10device_ptrItEEEE19inplace_divide_by_2EElLj1EEEvT0_T1_SG_
; %bb.0:
	s_load_dwordx4 s[8:11], s[4:5], 0x10
	s_load_dwordx2 s[2:3], s[4:5], 0x0
	s_lshl_b32 s0, s6, 8
	v_mov_b32_e32 v1, 0x100
	v_mov_b32_e32 v2, 0
	s_waitcnt lgkmcnt(0)
	s_add_u32 s0, s10, s0
	s_addc_u32 s1, s11, 0
	s_sub_u32 s6, s8, s0
	s_subb_u32 s7, s9, s1
	v_cmp_lt_i64_e32 vcc, s[6:7], v[1:2]
	s_and_b64 s[4:5], vcc, exec
	s_cselect_b32 s6, s6, 0x100
	s_cmpk_eq_i32 s6, 0x100
	s_mov_b64 s[4:5], -1
	s_cbranch_scc0 .LBB4_3
; %bb.1:
	s_andn2_b64 vcc, exec, s[4:5]
	s_cbranch_vccz .LBB4_6
.LBB4_2:
	s_endpgm
.LBB4_3:
	v_cmp_gt_u32_e32 vcc, s6, v0
	s_and_saveexec_b64 s[4:5], vcc
	s_cbranch_execz .LBB4_5
; %bb.4:
	s_lshl_b64 s[6:7], s[0:1], 1
	s_add_u32 s6, s2, s6
	s_addc_u32 s7, s3, s7
	v_lshlrev_b32_e32 v1, 1, v0
	v_mov_b32_e32 v2, s7
	v_add_co_u32_e32 v1, vcc, s6, v1
	v_addc_co_u32_e32 v2, vcc, 0, v2, vcc
	flat_load_ushort v3, v[1:2]
	s_waitcnt vmcnt(0) lgkmcnt(0)
	v_lshrrev_b16_e32 v3, 1, v3
	flat_store_short v[1:2], v3
.LBB4_5:
	s_or_b64 exec, exec, s[4:5]
	s_cbranch_execnz .LBB4_2
.LBB4_6:
	s_lshl_b64 s[0:1], s[0:1], 1
	s_add_u32 s0, s2, s0
	s_addc_u32 s1, s3, s1
	v_lshlrev_b32_e32 v0, 1, v0
	v_mov_b32_e32 v1, s1
	v_add_co_u32_e32 v0, vcc, s0, v0
	v_addc_co_u32_e32 v1, vcc, 0, v1, vcc
	flat_load_ushort v2, v[0:1]
	s_waitcnt vmcnt(0) lgkmcnt(0)
	v_lshrrev_b16_e32 v2, 1, v2
	flat_store_short v[0:1], v2
	s_endpgm
	.section	.rodata,"a",@progbits
	.p2align	6, 0x0
	.amdhsa_kernel _ZN6thrust23THRUST_200600_302600_NS11hip_rocprim14__parallel_for6kernelILj256ENS0_6system3hip6detail17async_for_each_fnINS0_6detail15normal_iteratorINS0_10device_ptrItEEEE19inplace_divide_by_2EElLj1EEEvT0_T1_SG_
		.amdhsa_group_segment_fixed_size 0
		.amdhsa_private_segment_fixed_size 0
		.amdhsa_kernarg_size 32
		.amdhsa_user_sgpr_count 6
		.amdhsa_user_sgpr_private_segment_buffer 1
		.amdhsa_user_sgpr_dispatch_ptr 0
		.amdhsa_user_sgpr_queue_ptr 0
		.amdhsa_user_sgpr_kernarg_segment_ptr 1
		.amdhsa_user_sgpr_dispatch_id 0
		.amdhsa_user_sgpr_flat_scratch_init 0
		.amdhsa_user_sgpr_private_segment_size 0
		.amdhsa_uses_dynamic_stack 0
		.amdhsa_system_sgpr_private_segment_wavefront_offset 0
		.amdhsa_system_sgpr_workgroup_id_x 1
		.amdhsa_system_sgpr_workgroup_id_y 0
		.amdhsa_system_sgpr_workgroup_id_z 0
		.amdhsa_system_sgpr_workgroup_info 0
		.amdhsa_system_vgpr_workitem_id 0
		.amdhsa_next_free_vgpr 4
		.amdhsa_next_free_sgpr 12
		.amdhsa_reserve_vcc 1
		.amdhsa_reserve_flat_scratch 0
		.amdhsa_float_round_mode_32 0
		.amdhsa_float_round_mode_16_64 0
		.amdhsa_float_denorm_mode_32 3
		.amdhsa_float_denorm_mode_16_64 3
		.amdhsa_dx10_clamp 1
		.amdhsa_ieee_mode 1
		.amdhsa_fp16_overflow 0
		.amdhsa_exception_fp_ieee_invalid_op 0
		.amdhsa_exception_fp_denorm_src 0
		.amdhsa_exception_fp_ieee_div_zero 0
		.amdhsa_exception_fp_ieee_overflow 0
		.amdhsa_exception_fp_ieee_underflow 0
		.amdhsa_exception_fp_ieee_inexact 0
		.amdhsa_exception_int_div_zero 0
	.end_amdhsa_kernel
	.section	.text._ZN6thrust23THRUST_200600_302600_NS11hip_rocprim14__parallel_for6kernelILj256ENS0_6system3hip6detail17async_for_each_fnINS0_6detail15normal_iteratorINS0_10device_ptrItEEEE19inplace_divide_by_2EElLj1EEEvT0_T1_SG_,"axG",@progbits,_ZN6thrust23THRUST_200600_302600_NS11hip_rocprim14__parallel_for6kernelILj256ENS0_6system3hip6detail17async_for_each_fnINS0_6detail15normal_iteratorINS0_10device_ptrItEEEE19inplace_divide_by_2EElLj1EEEvT0_T1_SG_,comdat
.Lfunc_end4:
	.size	_ZN6thrust23THRUST_200600_302600_NS11hip_rocprim14__parallel_for6kernelILj256ENS0_6system3hip6detail17async_for_each_fnINS0_6detail15normal_iteratorINS0_10device_ptrItEEEE19inplace_divide_by_2EElLj1EEEvT0_T1_SG_, .Lfunc_end4-_ZN6thrust23THRUST_200600_302600_NS11hip_rocprim14__parallel_for6kernelILj256ENS0_6system3hip6detail17async_for_each_fnINS0_6detail15normal_iteratorINS0_10device_ptrItEEEE19inplace_divide_by_2EElLj1EEEvT0_T1_SG_
                                        ; -- End function
	.set _ZN6thrust23THRUST_200600_302600_NS11hip_rocprim14__parallel_for6kernelILj256ENS0_6system3hip6detail17async_for_each_fnINS0_6detail15normal_iteratorINS0_10device_ptrItEEEE19inplace_divide_by_2EElLj1EEEvT0_T1_SG_.num_vgpr, 4
	.set _ZN6thrust23THRUST_200600_302600_NS11hip_rocprim14__parallel_for6kernelILj256ENS0_6system3hip6detail17async_for_each_fnINS0_6detail15normal_iteratorINS0_10device_ptrItEEEE19inplace_divide_by_2EElLj1EEEvT0_T1_SG_.num_agpr, 0
	.set _ZN6thrust23THRUST_200600_302600_NS11hip_rocprim14__parallel_for6kernelILj256ENS0_6system3hip6detail17async_for_each_fnINS0_6detail15normal_iteratorINS0_10device_ptrItEEEE19inplace_divide_by_2EElLj1EEEvT0_T1_SG_.numbered_sgpr, 12
	.set _ZN6thrust23THRUST_200600_302600_NS11hip_rocprim14__parallel_for6kernelILj256ENS0_6system3hip6detail17async_for_each_fnINS0_6detail15normal_iteratorINS0_10device_ptrItEEEE19inplace_divide_by_2EElLj1EEEvT0_T1_SG_.num_named_barrier, 0
	.set _ZN6thrust23THRUST_200600_302600_NS11hip_rocprim14__parallel_for6kernelILj256ENS0_6system3hip6detail17async_for_each_fnINS0_6detail15normal_iteratorINS0_10device_ptrItEEEE19inplace_divide_by_2EElLj1EEEvT0_T1_SG_.private_seg_size, 0
	.set _ZN6thrust23THRUST_200600_302600_NS11hip_rocprim14__parallel_for6kernelILj256ENS0_6system3hip6detail17async_for_each_fnINS0_6detail15normal_iteratorINS0_10device_ptrItEEEE19inplace_divide_by_2EElLj1EEEvT0_T1_SG_.uses_vcc, 1
	.set _ZN6thrust23THRUST_200600_302600_NS11hip_rocprim14__parallel_for6kernelILj256ENS0_6system3hip6detail17async_for_each_fnINS0_6detail15normal_iteratorINS0_10device_ptrItEEEE19inplace_divide_by_2EElLj1EEEvT0_T1_SG_.uses_flat_scratch, 0
	.set _ZN6thrust23THRUST_200600_302600_NS11hip_rocprim14__parallel_for6kernelILj256ENS0_6system3hip6detail17async_for_each_fnINS0_6detail15normal_iteratorINS0_10device_ptrItEEEE19inplace_divide_by_2EElLj1EEEvT0_T1_SG_.has_dyn_sized_stack, 0
	.set _ZN6thrust23THRUST_200600_302600_NS11hip_rocprim14__parallel_for6kernelILj256ENS0_6system3hip6detail17async_for_each_fnINS0_6detail15normal_iteratorINS0_10device_ptrItEEEE19inplace_divide_by_2EElLj1EEEvT0_T1_SG_.has_recursion, 0
	.set _ZN6thrust23THRUST_200600_302600_NS11hip_rocprim14__parallel_for6kernelILj256ENS0_6system3hip6detail17async_for_each_fnINS0_6detail15normal_iteratorINS0_10device_ptrItEEEE19inplace_divide_by_2EElLj1EEEvT0_T1_SG_.has_indirect_call, 0
	.section	.AMDGPU.csdata,"",@progbits
; Kernel info:
; codeLenInByte = 220
; TotalNumSgprs: 16
; NumVgprs: 4
; ScratchSize: 0
; MemoryBound: 0
; FloatMode: 240
; IeeeMode: 1
; LDSByteSize: 0 bytes/workgroup (compile time only)
; SGPRBlocks: 1
; VGPRBlocks: 0
; NumSGPRsForWavesPerEU: 16
; NumVGPRsForWavesPerEU: 4
; Occupancy: 10
; WaveLimiterHint : 0
; COMPUTE_PGM_RSRC2:SCRATCH_EN: 0
; COMPUTE_PGM_RSRC2:USER_SGPR: 6
; COMPUTE_PGM_RSRC2:TRAP_HANDLER: 0
; COMPUTE_PGM_RSRC2:TGID_X_EN: 1
; COMPUTE_PGM_RSRC2:TGID_Y_EN: 0
; COMPUTE_PGM_RSRC2:TGID_Z_EN: 0
; COMPUTE_PGM_RSRC2:TIDIG_COMP_CNT: 0
	.section	.text._ZN6thrust23THRUST_200600_302600_NS11hip_rocprim14__parallel_for6kernelILj256ENS0_6system3hip6detail17async_for_each_fnINS0_6detail15normal_iteratorINS0_10device_ptrIiEEEE19inplace_divide_by_2EElLj1EEEvT0_T1_SG_,"axG",@progbits,_ZN6thrust23THRUST_200600_302600_NS11hip_rocprim14__parallel_for6kernelILj256ENS0_6system3hip6detail17async_for_each_fnINS0_6detail15normal_iteratorINS0_10device_ptrIiEEEE19inplace_divide_by_2EElLj1EEEvT0_T1_SG_,comdat
	.protected	_ZN6thrust23THRUST_200600_302600_NS11hip_rocprim14__parallel_for6kernelILj256ENS0_6system3hip6detail17async_for_each_fnINS0_6detail15normal_iteratorINS0_10device_ptrIiEEEE19inplace_divide_by_2EElLj1EEEvT0_T1_SG_ ; -- Begin function _ZN6thrust23THRUST_200600_302600_NS11hip_rocprim14__parallel_for6kernelILj256ENS0_6system3hip6detail17async_for_each_fnINS0_6detail15normal_iteratorINS0_10device_ptrIiEEEE19inplace_divide_by_2EElLj1EEEvT0_T1_SG_
	.globl	_ZN6thrust23THRUST_200600_302600_NS11hip_rocprim14__parallel_for6kernelILj256ENS0_6system3hip6detail17async_for_each_fnINS0_6detail15normal_iteratorINS0_10device_ptrIiEEEE19inplace_divide_by_2EElLj1EEEvT0_T1_SG_
	.p2align	8
	.type	_ZN6thrust23THRUST_200600_302600_NS11hip_rocprim14__parallel_for6kernelILj256ENS0_6system3hip6detail17async_for_each_fnINS0_6detail15normal_iteratorINS0_10device_ptrIiEEEE19inplace_divide_by_2EElLj1EEEvT0_T1_SG_,@function
_ZN6thrust23THRUST_200600_302600_NS11hip_rocprim14__parallel_for6kernelILj256ENS0_6system3hip6detail17async_for_each_fnINS0_6detail15normal_iteratorINS0_10device_ptrIiEEEE19inplace_divide_by_2EElLj1EEEvT0_T1_SG_: ; @_ZN6thrust23THRUST_200600_302600_NS11hip_rocprim14__parallel_for6kernelILj256ENS0_6system3hip6detail17async_for_each_fnINS0_6detail15normal_iteratorINS0_10device_ptrIiEEEE19inplace_divide_by_2EElLj1EEEvT0_T1_SG_
; %bb.0:
	s_load_dwordx4 s[8:11], s[4:5], 0x10
	s_load_dwordx2 s[2:3], s[4:5], 0x0
	s_lshl_b32 s0, s6, 8
	v_mov_b32_e32 v1, 0x100
	v_mov_b32_e32 v2, 0
	s_waitcnt lgkmcnt(0)
	s_add_u32 s0, s10, s0
	s_addc_u32 s1, s11, 0
	s_sub_u32 s6, s8, s0
	s_subb_u32 s7, s9, s1
	v_cmp_lt_i64_e32 vcc, s[6:7], v[1:2]
	s_and_b64 s[4:5], vcc, exec
	s_cselect_b32 s6, s6, 0x100
	s_cmpk_eq_i32 s6, 0x100
	s_mov_b64 s[4:5], -1
	s_cbranch_scc0 .LBB5_3
; %bb.1:
	s_andn2_b64 vcc, exec, s[4:5]
	s_cbranch_vccz .LBB5_6
.LBB5_2:
	s_endpgm
.LBB5_3:
	v_cmp_gt_u32_e32 vcc, s6, v0
	s_and_saveexec_b64 s[4:5], vcc
	s_cbranch_execz .LBB5_5
; %bb.4:
	s_lshl_b64 s[6:7], s[0:1], 2
	s_add_u32 s6, s2, s6
	s_addc_u32 s7, s3, s7
	v_lshlrev_b32_e32 v1, 2, v0
	v_mov_b32_e32 v2, s7
	v_add_co_u32_e32 v1, vcc, s6, v1
	v_addc_co_u32_e32 v2, vcc, 0, v2, vcc
	flat_load_dword v3, v[1:2]
	s_waitcnt vmcnt(0) lgkmcnt(0)
	v_lshrrev_b32_e32 v4, 31, v3
	v_add_u32_e32 v3, v3, v4
	v_ashrrev_i32_e32 v3, 1, v3
	flat_store_dword v[1:2], v3
.LBB5_5:
	s_or_b64 exec, exec, s[4:5]
	s_cbranch_execnz .LBB5_2
.LBB5_6:
	s_lshl_b64 s[0:1], s[0:1], 2
	s_add_u32 s0, s2, s0
	s_addc_u32 s1, s3, s1
	v_lshlrev_b32_e32 v0, 2, v0
	v_mov_b32_e32 v1, s1
	v_add_co_u32_e32 v0, vcc, s0, v0
	v_addc_co_u32_e32 v1, vcc, 0, v1, vcc
	flat_load_dword v2, v[0:1]
	s_waitcnt vmcnt(0) lgkmcnt(0)
	v_lshrrev_b32_e32 v3, 31, v2
	v_add_u32_e32 v2, v2, v3
	v_ashrrev_i32_e32 v2, 1, v2
	flat_store_dword v[0:1], v2
	s_endpgm
	.section	.rodata,"a",@progbits
	.p2align	6, 0x0
	.amdhsa_kernel _ZN6thrust23THRUST_200600_302600_NS11hip_rocprim14__parallel_for6kernelILj256ENS0_6system3hip6detail17async_for_each_fnINS0_6detail15normal_iteratorINS0_10device_ptrIiEEEE19inplace_divide_by_2EElLj1EEEvT0_T1_SG_
		.amdhsa_group_segment_fixed_size 0
		.amdhsa_private_segment_fixed_size 0
		.amdhsa_kernarg_size 32
		.amdhsa_user_sgpr_count 6
		.amdhsa_user_sgpr_private_segment_buffer 1
		.amdhsa_user_sgpr_dispatch_ptr 0
		.amdhsa_user_sgpr_queue_ptr 0
		.amdhsa_user_sgpr_kernarg_segment_ptr 1
		.amdhsa_user_sgpr_dispatch_id 0
		.amdhsa_user_sgpr_flat_scratch_init 0
		.amdhsa_user_sgpr_private_segment_size 0
		.amdhsa_uses_dynamic_stack 0
		.amdhsa_system_sgpr_private_segment_wavefront_offset 0
		.amdhsa_system_sgpr_workgroup_id_x 1
		.amdhsa_system_sgpr_workgroup_id_y 0
		.amdhsa_system_sgpr_workgroup_id_z 0
		.amdhsa_system_sgpr_workgroup_info 0
		.amdhsa_system_vgpr_workitem_id 0
		.amdhsa_next_free_vgpr 5
		.amdhsa_next_free_sgpr 12
		.amdhsa_reserve_vcc 1
		.amdhsa_reserve_flat_scratch 0
		.amdhsa_float_round_mode_32 0
		.amdhsa_float_round_mode_16_64 0
		.amdhsa_float_denorm_mode_32 3
		.amdhsa_float_denorm_mode_16_64 3
		.amdhsa_dx10_clamp 1
		.amdhsa_ieee_mode 1
		.amdhsa_fp16_overflow 0
		.amdhsa_exception_fp_ieee_invalid_op 0
		.amdhsa_exception_fp_denorm_src 0
		.amdhsa_exception_fp_ieee_div_zero 0
		.amdhsa_exception_fp_ieee_overflow 0
		.amdhsa_exception_fp_ieee_underflow 0
		.amdhsa_exception_fp_ieee_inexact 0
		.amdhsa_exception_int_div_zero 0
	.end_amdhsa_kernel
	.section	.text._ZN6thrust23THRUST_200600_302600_NS11hip_rocprim14__parallel_for6kernelILj256ENS0_6system3hip6detail17async_for_each_fnINS0_6detail15normal_iteratorINS0_10device_ptrIiEEEE19inplace_divide_by_2EElLj1EEEvT0_T1_SG_,"axG",@progbits,_ZN6thrust23THRUST_200600_302600_NS11hip_rocprim14__parallel_for6kernelILj256ENS0_6system3hip6detail17async_for_each_fnINS0_6detail15normal_iteratorINS0_10device_ptrIiEEEE19inplace_divide_by_2EElLj1EEEvT0_T1_SG_,comdat
.Lfunc_end5:
	.size	_ZN6thrust23THRUST_200600_302600_NS11hip_rocprim14__parallel_for6kernelILj256ENS0_6system3hip6detail17async_for_each_fnINS0_6detail15normal_iteratorINS0_10device_ptrIiEEEE19inplace_divide_by_2EElLj1EEEvT0_T1_SG_, .Lfunc_end5-_ZN6thrust23THRUST_200600_302600_NS11hip_rocprim14__parallel_for6kernelILj256ENS0_6system3hip6detail17async_for_each_fnINS0_6detail15normal_iteratorINS0_10device_ptrIiEEEE19inplace_divide_by_2EElLj1EEEvT0_T1_SG_
                                        ; -- End function
	.set _ZN6thrust23THRUST_200600_302600_NS11hip_rocprim14__parallel_for6kernelILj256ENS0_6system3hip6detail17async_for_each_fnINS0_6detail15normal_iteratorINS0_10device_ptrIiEEEE19inplace_divide_by_2EElLj1EEEvT0_T1_SG_.num_vgpr, 5
	.set _ZN6thrust23THRUST_200600_302600_NS11hip_rocprim14__parallel_for6kernelILj256ENS0_6system3hip6detail17async_for_each_fnINS0_6detail15normal_iteratorINS0_10device_ptrIiEEEE19inplace_divide_by_2EElLj1EEEvT0_T1_SG_.num_agpr, 0
	.set _ZN6thrust23THRUST_200600_302600_NS11hip_rocprim14__parallel_for6kernelILj256ENS0_6system3hip6detail17async_for_each_fnINS0_6detail15normal_iteratorINS0_10device_ptrIiEEEE19inplace_divide_by_2EElLj1EEEvT0_T1_SG_.numbered_sgpr, 12
	.set _ZN6thrust23THRUST_200600_302600_NS11hip_rocprim14__parallel_for6kernelILj256ENS0_6system3hip6detail17async_for_each_fnINS0_6detail15normal_iteratorINS0_10device_ptrIiEEEE19inplace_divide_by_2EElLj1EEEvT0_T1_SG_.num_named_barrier, 0
	.set _ZN6thrust23THRUST_200600_302600_NS11hip_rocprim14__parallel_for6kernelILj256ENS0_6system3hip6detail17async_for_each_fnINS0_6detail15normal_iteratorINS0_10device_ptrIiEEEE19inplace_divide_by_2EElLj1EEEvT0_T1_SG_.private_seg_size, 0
	.set _ZN6thrust23THRUST_200600_302600_NS11hip_rocprim14__parallel_for6kernelILj256ENS0_6system3hip6detail17async_for_each_fnINS0_6detail15normal_iteratorINS0_10device_ptrIiEEEE19inplace_divide_by_2EElLj1EEEvT0_T1_SG_.uses_vcc, 1
	.set _ZN6thrust23THRUST_200600_302600_NS11hip_rocprim14__parallel_for6kernelILj256ENS0_6system3hip6detail17async_for_each_fnINS0_6detail15normal_iteratorINS0_10device_ptrIiEEEE19inplace_divide_by_2EElLj1EEEvT0_T1_SG_.uses_flat_scratch, 0
	.set _ZN6thrust23THRUST_200600_302600_NS11hip_rocprim14__parallel_for6kernelILj256ENS0_6system3hip6detail17async_for_each_fnINS0_6detail15normal_iteratorINS0_10device_ptrIiEEEE19inplace_divide_by_2EElLj1EEEvT0_T1_SG_.has_dyn_sized_stack, 0
	.set _ZN6thrust23THRUST_200600_302600_NS11hip_rocprim14__parallel_for6kernelILj256ENS0_6system3hip6detail17async_for_each_fnINS0_6detail15normal_iteratorINS0_10device_ptrIiEEEE19inplace_divide_by_2EElLj1EEEvT0_T1_SG_.has_recursion, 0
	.set _ZN6thrust23THRUST_200600_302600_NS11hip_rocprim14__parallel_for6kernelILj256ENS0_6system3hip6detail17async_for_each_fnINS0_6detail15normal_iteratorINS0_10device_ptrIiEEEE19inplace_divide_by_2EElLj1EEEvT0_T1_SG_.has_indirect_call, 0
	.section	.AMDGPU.csdata,"",@progbits
; Kernel info:
; codeLenInByte = 236
; TotalNumSgprs: 16
; NumVgprs: 5
; ScratchSize: 0
; MemoryBound: 0
; FloatMode: 240
; IeeeMode: 1
; LDSByteSize: 0 bytes/workgroup (compile time only)
; SGPRBlocks: 1
; VGPRBlocks: 1
; NumSGPRsForWavesPerEU: 16
; NumVGPRsForWavesPerEU: 5
; Occupancy: 10
; WaveLimiterHint : 0
; COMPUTE_PGM_RSRC2:SCRATCH_EN: 0
; COMPUTE_PGM_RSRC2:USER_SGPR: 6
; COMPUTE_PGM_RSRC2:TRAP_HANDLER: 0
; COMPUTE_PGM_RSRC2:TGID_X_EN: 1
; COMPUTE_PGM_RSRC2:TGID_Y_EN: 0
; COMPUTE_PGM_RSRC2:TGID_Z_EN: 0
; COMPUTE_PGM_RSRC2:TIDIG_COMP_CNT: 0
	.section	.text._ZN6thrust23THRUST_200600_302600_NS11hip_rocprim14__parallel_for6kernelILj256ENS0_6system3hip6detail17async_for_each_fnINS0_6detail15normal_iteratorINS0_10device_ptrIjEEEE19inplace_divide_by_2EElLj1EEEvT0_T1_SG_,"axG",@progbits,_ZN6thrust23THRUST_200600_302600_NS11hip_rocprim14__parallel_for6kernelILj256ENS0_6system3hip6detail17async_for_each_fnINS0_6detail15normal_iteratorINS0_10device_ptrIjEEEE19inplace_divide_by_2EElLj1EEEvT0_T1_SG_,comdat
	.protected	_ZN6thrust23THRUST_200600_302600_NS11hip_rocprim14__parallel_for6kernelILj256ENS0_6system3hip6detail17async_for_each_fnINS0_6detail15normal_iteratorINS0_10device_ptrIjEEEE19inplace_divide_by_2EElLj1EEEvT0_T1_SG_ ; -- Begin function _ZN6thrust23THRUST_200600_302600_NS11hip_rocprim14__parallel_for6kernelILj256ENS0_6system3hip6detail17async_for_each_fnINS0_6detail15normal_iteratorINS0_10device_ptrIjEEEE19inplace_divide_by_2EElLj1EEEvT0_T1_SG_
	.globl	_ZN6thrust23THRUST_200600_302600_NS11hip_rocprim14__parallel_for6kernelILj256ENS0_6system3hip6detail17async_for_each_fnINS0_6detail15normal_iteratorINS0_10device_ptrIjEEEE19inplace_divide_by_2EElLj1EEEvT0_T1_SG_
	.p2align	8
	.type	_ZN6thrust23THRUST_200600_302600_NS11hip_rocprim14__parallel_for6kernelILj256ENS0_6system3hip6detail17async_for_each_fnINS0_6detail15normal_iteratorINS0_10device_ptrIjEEEE19inplace_divide_by_2EElLj1EEEvT0_T1_SG_,@function
_ZN6thrust23THRUST_200600_302600_NS11hip_rocprim14__parallel_for6kernelILj256ENS0_6system3hip6detail17async_for_each_fnINS0_6detail15normal_iteratorINS0_10device_ptrIjEEEE19inplace_divide_by_2EElLj1EEEvT0_T1_SG_: ; @_ZN6thrust23THRUST_200600_302600_NS11hip_rocprim14__parallel_for6kernelILj256ENS0_6system3hip6detail17async_for_each_fnINS0_6detail15normal_iteratorINS0_10device_ptrIjEEEE19inplace_divide_by_2EElLj1EEEvT0_T1_SG_
; %bb.0:
	s_load_dwordx4 s[8:11], s[4:5], 0x10
	s_load_dwordx2 s[2:3], s[4:5], 0x0
	s_lshl_b32 s0, s6, 8
	v_mov_b32_e32 v1, 0x100
	v_mov_b32_e32 v2, 0
	s_waitcnt lgkmcnt(0)
	s_add_u32 s0, s10, s0
	s_addc_u32 s1, s11, 0
	s_sub_u32 s6, s8, s0
	s_subb_u32 s7, s9, s1
	v_cmp_lt_i64_e32 vcc, s[6:7], v[1:2]
	s_and_b64 s[4:5], vcc, exec
	s_cselect_b32 s6, s6, 0x100
	s_cmpk_eq_i32 s6, 0x100
	s_mov_b64 s[4:5], -1
	s_cbranch_scc0 .LBB6_3
; %bb.1:
	s_andn2_b64 vcc, exec, s[4:5]
	s_cbranch_vccz .LBB6_6
.LBB6_2:
	s_endpgm
.LBB6_3:
	v_cmp_gt_u32_e32 vcc, s6, v0
	s_and_saveexec_b64 s[4:5], vcc
	s_cbranch_execz .LBB6_5
; %bb.4:
	s_lshl_b64 s[6:7], s[0:1], 2
	s_add_u32 s6, s2, s6
	s_addc_u32 s7, s3, s7
	v_lshlrev_b32_e32 v1, 2, v0
	v_mov_b32_e32 v2, s7
	v_add_co_u32_e32 v1, vcc, s6, v1
	v_addc_co_u32_e32 v2, vcc, 0, v2, vcc
	flat_load_dword v3, v[1:2]
	s_waitcnt vmcnt(0) lgkmcnt(0)
	v_lshrrev_b32_e32 v3, 1, v3
	flat_store_dword v[1:2], v3
.LBB6_5:
	s_or_b64 exec, exec, s[4:5]
	s_cbranch_execnz .LBB6_2
.LBB6_6:
	s_lshl_b64 s[0:1], s[0:1], 2
	s_add_u32 s0, s2, s0
	s_addc_u32 s1, s3, s1
	v_lshlrev_b32_e32 v0, 2, v0
	v_mov_b32_e32 v1, s1
	v_add_co_u32_e32 v0, vcc, s0, v0
	v_addc_co_u32_e32 v1, vcc, 0, v1, vcc
	flat_load_dword v2, v[0:1]
	s_waitcnt vmcnt(0) lgkmcnt(0)
	v_lshrrev_b32_e32 v2, 1, v2
	flat_store_dword v[0:1], v2
	s_endpgm
	.section	.rodata,"a",@progbits
	.p2align	6, 0x0
	.amdhsa_kernel _ZN6thrust23THRUST_200600_302600_NS11hip_rocprim14__parallel_for6kernelILj256ENS0_6system3hip6detail17async_for_each_fnINS0_6detail15normal_iteratorINS0_10device_ptrIjEEEE19inplace_divide_by_2EElLj1EEEvT0_T1_SG_
		.amdhsa_group_segment_fixed_size 0
		.amdhsa_private_segment_fixed_size 0
		.amdhsa_kernarg_size 32
		.amdhsa_user_sgpr_count 6
		.amdhsa_user_sgpr_private_segment_buffer 1
		.amdhsa_user_sgpr_dispatch_ptr 0
		.amdhsa_user_sgpr_queue_ptr 0
		.amdhsa_user_sgpr_kernarg_segment_ptr 1
		.amdhsa_user_sgpr_dispatch_id 0
		.amdhsa_user_sgpr_flat_scratch_init 0
		.amdhsa_user_sgpr_private_segment_size 0
		.amdhsa_uses_dynamic_stack 0
		.amdhsa_system_sgpr_private_segment_wavefront_offset 0
		.amdhsa_system_sgpr_workgroup_id_x 1
		.amdhsa_system_sgpr_workgroup_id_y 0
		.amdhsa_system_sgpr_workgroup_id_z 0
		.amdhsa_system_sgpr_workgroup_info 0
		.amdhsa_system_vgpr_workitem_id 0
		.amdhsa_next_free_vgpr 4
		.amdhsa_next_free_sgpr 12
		.amdhsa_reserve_vcc 1
		.amdhsa_reserve_flat_scratch 0
		.amdhsa_float_round_mode_32 0
		.amdhsa_float_round_mode_16_64 0
		.amdhsa_float_denorm_mode_32 3
		.amdhsa_float_denorm_mode_16_64 3
		.amdhsa_dx10_clamp 1
		.amdhsa_ieee_mode 1
		.amdhsa_fp16_overflow 0
		.amdhsa_exception_fp_ieee_invalid_op 0
		.amdhsa_exception_fp_denorm_src 0
		.amdhsa_exception_fp_ieee_div_zero 0
		.amdhsa_exception_fp_ieee_overflow 0
		.amdhsa_exception_fp_ieee_underflow 0
		.amdhsa_exception_fp_ieee_inexact 0
		.amdhsa_exception_int_div_zero 0
	.end_amdhsa_kernel
	.section	.text._ZN6thrust23THRUST_200600_302600_NS11hip_rocprim14__parallel_for6kernelILj256ENS0_6system3hip6detail17async_for_each_fnINS0_6detail15normal_iteratorINS0_10device_ptrIjEEEE19inplace_divide_by_2EElLj1EEEvT0_T1_SG_,"axG",@progbits,_ZN6thrust23THRUST_200600_302600_NS11hip_rocprim14__parallel_for6kernelILj256ENS0_6system3hip6detail17async_for_each_fnINS0_6detail15normal_iteratorINS0_10device_ptrIjEEEE19inplace_divide_by_2EElLj1EEEvT0_T1_SG_,comdat
.Lfunc_end6:
	.size	_ZN6thrust23THRUST_200600_302600_NS11hip_rocprim14__parallel_for6kernelILj256ENS0_6system3hip6detail17async_for_each_fnINS0_6detail15normal_iteratorINS0_10device_ptrIjEEEE19inplace_divide_by_2EElLj1EEEvT0_T1_SG_, .Lfunc_end6-_ZN6thrust23THRUST_200600_302600_NS11hip_rocprim14__parallel_for6kernelILj256ENS0_6system3hip6detail17async_for_each_fnINS0_6detail15normal_iteratorINS0_10device_ptrIjEEEE19inplace_divide_by_2EElLj1EEEvT0_T1_SG_
                                        ; -- End function
	.set _ZN6thrust23THRUST_200600_302600_NS11hip_rocprim14__parallel_for6kernelILj256ENS0_6system3hip6detail17async_for_each_fnINS0_6detail15normal_iteratorINS0_10device_ptrIjEEEE19inplace_divide_by_2EElLj1EEEvT0_T1_SG_.num_vgpr, 4
	.set _ZN6thrust23THRUST_200600_302600_NS11hip_rocprim14__parallel_for6kernelILj256ENS0_6system3hip6detail17async_for_each_fnINS0_6detail15normal_iteratorINS0_10device_ptrIjEEEE19inplace_divide_by_2EElLj1EEEvT0_T1_SG_.num_agpr, 0
	.set _ZN6thrust23THRUST_200600_302600_NS11hip_rocprim14__parallel_for6kernelILj256ENS0_6system3hip6detail17async_for_each_fnINS0_6detail15normal_iteratorINS0_10device_ptrIjEEEE19inplace_divide_by_2EElLj1EEEvT0_T1_SG_.numbered_sgpr, 12
	.set _ZN6thrust23THRUST_200600_302600_NS11hip_rocprim14__parallel_for6kernelILj256ENS0_6system3hip6detail17async_for_each_fnINS0_6detail15normal_iteratorINS0_10device_ptrIjEEEE19inplace_divide_by_2EElLj1EEEvT0_T1_SG_.num_named_barrier, 0
	.set _ZN6thrust23THRUST_200600_302600_NS11hip_rocprim14__parallel_for6kernelILj256ENS0_6system3hip6detail17async_for_each_fnINS0_6detail15normal_iteratorINS0_10device_ptrIjEEEE19inplace_divide_by_2EElLj1EEEvT0_T1_SG_.private_seg_size, 0
	.set _ZN6thrust23THRUST_200600_302600_NS11hip_rocprim14__parallel_for6kernelILj256ENS0_6system3hip6detail17async_for_each_fnINS0_6detail15normal_iteratorINS0_10device_ptrIjEEEE19inplace_divide_by_2EElLj1EEEvT0_T1_SG_.uses_vcc, 1
	.set _ZN6thrust23THRUST_200600_302600_NS11hip_rocprim14__parallel_for6kernelILj256ENS0_6system3hip6detail17async_for_each_fnINS0_6detail15normal_iteratorINS0_10device_ptrIjEEEE19inplace_divide_by_2EElLj1EEEvT0_T1_SG_.uses_flat_scratch, 0
	.set _ZN6thrust23THRUST_200600_302600_NS11hip_rocprim14__parallel_for6kernelILj256ENS0_6system3hip6detail17async_for_each_fnINS0_6detail15normal_iteratorINS0_10device_ptrIjEEEE19inplace_divide_by_2EElLj1EEEvT0_T1_SG_.has_dyn_sized_stack, 0
	.set _ZN6thrust23THRUST_200600_302600_NS11hip_rocprim14__parallel_for6kernelILj256ENS0_6system3hip6detail17async_for_each_fnINS0_6detail15normal_iteratorINS0_10device_ptrIjEEEE19inplace_divide_by_2EElLj1EEEvT0_T1_SG_.has_recursion, 0
	.set _ZN6thrust23THRUST_200600_302600_NS11hip_rocprim14__parallel_for6kernelILj256ENS0_6system3hip6detail17async_for_each_fnINS0_6detail15normal_iteratorINS0_10device_ptrIjEEEE19inplace_divide_by_2EElLj1EEEvT0_T1_SG_.has_indirect_call, 0
	.section	.AMDGPU.csdata,"",@progbits
; Kernel info:
; codeLenInByte = 220
; TotalNumSgprs: 16
; NumVgprs: 4
; ScratchSize: 0
; MemoryBound: 0
; FloatMode: 240
; IeeeMode: 1
; LDSByteSize: 0 bytes/workgroup (compile time only)
; SGPRBlocks: 1
; VGPRBlocks: 0
; NumSGPRsForWavesPerEU: 16
; NumVGPRsForWavesPerEU: 4
; Occupancy: 10
; WaveLimiterHint : 0
; COMPUTE_PGM_RSRC2:SCRATCH_EN: 0
; COMPUTE_PGM_RSRC2:USER_SGPR: 6
; COMPUTE_PGM_RSRC2:TRAP_HANDLER: 0
; COMPUTE_PGM_RSRC2:TGID_X_EN: 1
; COMPUTE_PGM_RSRC2:TGID_Y_EN: 0
; COMPUTE_PGM_RSRC2:TGID_Z_EN: 0
; COMPUTE_PGM_RSRC2:TIDIG_COMP_CNT: 0
	.section	.text._ZN6thrust23THRUST_200600_302600_NS11hip_rocprim14__parallel_for6kernelILj256ENS0_6system3hip6detail17async_for_each_fnINS0_6detail15normal_iteratorINS0_10device_ptrIlEEEE19inplace_divide_by_2EElLj1EEEvT0_T1_SG_,"axG",@progbits,_ZN6thrust23THRUST_200600_302600_NS11hip_rocprim14__parallel_for6kernelILj256ENS0_6system3hip6detail17async_for_each_fnINS0_6detail15normal_iteratorINS0_10device_ptrIlEEEE19inplace_divide_by_2EElLj1EEEvT0_T1_SG_,comdat
	.protected	_ZN6thrust23THRUST_200600_302600_NS11hip_rocprim14__parallel_for6kernelILj256ENS0_6system3hip6detail17async_for_each_fnINS0_6detail15normal_iteratorINS0_10device_ptrIlEEEE19inplace_divide_by_2EElLj1EEEvT0_T1_SG_ ; -- Begin function _ZN6thrust23THRUST_200600_302600_NS11hip_rocprim14__parallel_for6kernelILj256ENS0_6system3hip6detail17async_for_each_fnINS0_6detail15normal_iteratorINS0_10device_ptrIlEEEE19inplace_divide_by_2EElLj1EEEvT0_T1_SG_
	.globl	_ZN6thrust23THRUST_200600_302600_NS11hip_rocprim14__parallel_for6kernelILj256ENS0_6system3hip6detail17async_for_each_fnINS0_6detail15normal_iteratorINS0_10device_ptrIlEEEE19inplace_divide_by_2EElLj1EEEvT0_T1_SG_
	.p2align	8
	.type	_ZN6thrust23THRUST_200600_302600_NS11hip_rocprim14__parallel_for6kernelILj256ENS0_6system3hip6detail17async_for_each_fnINS0_6detail15normal_iteratorINS0_10device_ptrIlEEEE19inplace_divide_by_2EElLj1EEEvT0_T1_SG_,@function
_ZN6thrust23THRUST_200600_302600_NS11hip_rocprim14__parallel_for6kernelILj256ENS0_6system3hip6detail17async_for_each_fnINS0_6detail15normal_iteratorINS0_10device_ptrIlEEEE19inplace_divide_by_2EElLj1EEEvT0_T1_SG_: ; @_ZN6thrust23THRUST_200600_302600_NS11hip_rocprim14__parallel_for6kernelILj256ENS0_6system3hip6detail17async_for_each_fnINS0_6detail15normal_iteratorINS0_10device_ptrIlEEEE19inplace_divide_by_2EElLj1EEEvT0_T1_SG_
; %bb.0:
	s_load_dwordx4 s[8:11], s[4:5], 0x10
	s_load_dwordx2 s[2:3], s[4:5], 0x0
	s_lshl_b32 s0, s6, 8
	v_mov_b32_e32 v1, 0x100
	v_mov_b32_e32 v2, 0
	s_waitcnt lgkmcnt(0)
	s_add_u32 s0, s10, s0
	s_addc_u32 s1, s11, 0
	s_sub_u32 s6, s8, s0
	s_subb_u32 s7, s9, s1
	v_cmp_lt_i64_e32 vcc, s[6:7], v[1:2]
	s_and_b64 s[4:5], vcc, exec
	s_cselect_b32 s6, s6, 0x100
	s_cmpk_eq_i32 s6, 0x100
	s_mov_b64 s[4:5], -1
	s_cbranch_scc0 .LBB7_3
; %bb.1:
	s_andn2_b64 vcc, exec, s[4:5]
	s_cbranch_vccz .LBB7_6
.LBB7_2:
	s_endpgm
.LBB7_3:
	v_cmp_gt_u32_e32 vcc, s6, v0
	s_and_saveexec_b64 s[4:5], vcc
	s_cbranch_execz .LBB7_5
; %bb.4:
	s_lshl_b64 s[6:7], s[0:1], 3
	s_add_u32 s6, s2, s6
	s_addc_u32 s7, s3, s7
	v_lshlrev_b32_e32 v1, 3, v0
	v_mov_b32_e32 v2, s7
	v_add_co_u32_e32 v1, vcc, s6, v1
	v_addc_co_u32_e32 v2, vcc, 0, v2, vcc
	flat_load_dwordx2 v[3:4], v[1:2]
	s_waitcnt vmcnt(0) lgkmcnt(0)
	v_lshrrev_b32_e32 v5, 31, v4
	v_add_co_u32_e32 v3, vcc, v3, v5
	v_addc_co_u32_e32 v4, vcc, 0, v4, vcc
	v_ashrrev_i64 v[3:4], 1, v[3:4]
	flat_store_dwordx2 v[1:2], v[3:4]
.LBB7_5:
	s_or_b64 exec, exec, s[4:5]
	s_cbranch_execnz .LBB7_2
.LBB7_6:
	s_lshl_b64 s[0:1], s[0:1], 3
	s_add_u32 s0, s2, s0
	s_addc_u32 s1, s3, s1
	v_lshlrev_b32_e32 v0, 3, v0
	v_mov_b32_e32 v1, s1
	v_add_co_u32_e32 v0, vcc, s0, v0
	v_addc_co_u32_e32 v1, vcc, 0, v1, vcc
	flat_load_dwordx2 v[2:3], v[0:1]
	s_waitcnt vmcnt(0) lgkmcnt(0)
	v_lshrrev_b32_e32 v4, 31, v3
	v_add_co_u32_e32 v2, vcc, v2, v4
	v_addc_co_u32_e32 v3, vcc, 0, v3, vcc
	v_ashrrev_i64 v[2:3], 1, v[2:3]
	flat_store_dwordx2 v[0:1], v[2:3]
	s_endpgm
	.section	.rodata,"a",@progbits
	.p2align	6, 0x0
	.amdhsa_kernel _ZN6thrust23THRUST_200600_302600_NS11hip_rocprim14__parallel_for6kernelILj256ENS0_6system3hip6detail17async_for_each_fnINS0_6detail15normal_iteratorINS0_10device_ptrIlEEEE19inplace_divide_by_2EElLj1EEEvT0_T1_SG_
		.amdhsa_group_segment_fixed_size 0
		.amdhsa_private_segment_fixed_size 0
		.amdhsa_kernarg_size 32
		.amdhsa_user_sgpr_count 6
		.amdhsa_user_sgpr_private_segment_buffer 1
		.amdhsa_user_sgpr_dispatch_ptr 0
		.amdhsa_user_sgpr_queue_ptr 0
		.amdhsa_user_sgpr_kernarg_segment_ptr 1
		.amdhsa_user_sgpr_dispatch_id 0
		.amdhsa_user_sgpr_flat_scratch_init 0
		.amdhsa_user_sgpr_private_segment_size 0
		.amdhsa_uses_dynamic_stack 0
		.amdhsa_system_sgpr_private_segment_wavefront_offset 0
		.amdhsa_system_sgpr_workgroup_id_x 1
		.amdhsa_system_sgpr_workgroup_id_y 0
		.amdhsa_system_sgpr_workgroup_id_z 0
		.amdhsa_system_sgpr_workgroup_info 0
		.amdhsa_system_vgpr_workitem_id 0
		.amdhsa_next_free_vgpr 6
		.amdhsa_next_free_sgpr 12
		.amdhsa_reserve_vcc 1
		.amdhsa_reserve_flat_scratch 0
		.amdhsa_float_round_mode_32 0
		.amdhsa_float_round_mode_16_64 0
		.amdhsa_float_denorm_mode_32 3
		.amdhsa_float_denorm_mode_16_64 3
		.amdhsa_dx10_clamp 1
		.amdhsa_ieee_mode 1
		.amdhsa_fp16_overflow 0
		.amdhsa_exception_fp_ieee_invalid_op 0
		.amdhsa_exception_fp_denorm_src 0
		.amdhsa_exception_fp_ieee_div_zero 0
		.amdhsa_exception_fp_ieee_overflow 0
		.amdhsa_exception_fp_ieee_underflow 0
		.amdhsa_exception_fp_ieee_inexact 0
		.amdhsa_exception_int_div_zero 0
	.end_amdhsa_kernel
	.section	.text._ZN6thrust23THRUST_200600_302600_NS11hip_rocprim14__parallel_for6kernelILj256ENS0_6system3hip6detail17async_for_each_fnINS0_6detail15normal_iteratorINS0_10device_ptrIlEEEE19inplace_divide_by_2EElLj1EEEvT0_T1_SG_,"axG",@progbits,_ZN6thrust23THRUST_200600_302600_NS11hip_rocprim14__parallel_for6kernelILj256ENS0_6system3hip6detail17async_for_each_fnINS0_6detail15normal_iteratorINS0_10device_ptrIlEEEE19inplace_divide_by_2EElLj1EEEvT0_T1_SG_,comdat
.Lfunc_end7:
	.size	_ZN6thrust23THRUST_200600_302600_NS11hip_rocprim14__parallel_for6kernelILj256ENS0_6system3hip6detail17async_for_each_fnINS0_6detail15normal_iteratorINS0_10device_ptrIlEEEE19inplace_divide_by_2EElLj1EEEvT0_T1_SG_, .Lfunc_end7-_ZN6thrust23THRUST_200600_302600_NS11hip_rocprim14__parallel_for6kernelILj256ENS0_6system3hip6detail17async_for_each_fnINS0_6detail15normal_iteratorINS0_10device_ptrIlEEEE19inplace_divide_by_2EElLj1EEEvT0_T1_SG_
                                        ; -- End function
	.set _ZN6thrust23THRUST_200600_302600_NS11hip_rocprim14__parallel_for6kernelILj256ENS0_6system3hip6detail17async_for_each_fnINS0_6detail15normal_iteratorINS0_10device_ptrIlEEEE19inplace_divide_by_2EElLj1EEEvT0_T1_SG_.num_vgpr, 6
	.set _ZN6thrust23THRUST_200600_302600_NS11hip_rocprim14__parallel_for6kernelILj256ENS0_6system3hip6detail17async_for_each_fnINS0_6detail15normal_iteratorINS0_10device_ptrIlEEEE19inplace_divide_by_2EElLj1EEEvT0_T1_SG_.num_agpr, 0
	.set _ZN6thrust23THRUST_200600_302600_NS11hip_rocprim14__parallel_for6kernelILj256ENS0_6system3hip6detail17async_for_each_fnINS0_6detail15normal_iteratorINS0_10device_ptrIlEEEE19inplace_divide_by_2EElLj1EEEvT0_T1_SG_.numbered_sgpr, 12
	.set _ZN6thrust23THRUST_200600_302600_NS11hip_rocprim14__parallel_for6kernelILj256ENS0_6system3hip6detail17async_for_each_fnINS0_6detail15normal_iteratorINS0_10device_ptrIlEEEE19inplace_divide_by_2EElLj1EEEvT0_T1_SG_.num_named_barrier, 0
	.set _ZN6thrust23THRUST_200600_302600_NS11hip_rocprim14__parallel_for6kernelILj256ENS0_6system3hip6detail17async_for_each_fnINS0_6detail15normal_iteratorINS0_10device_ptrIlEEEE19inplace_divide_by_2EElLj1EEEvT0_T1_SG_.private_seg_size, 0
	.set _ZN6thrust23THRUST_200600_302600_NS11hip_rocprim14__parallel_for6kernelILj256ENS0_6system3hip6detail17async_for_each_fnINS0_6detail15normal_iteratorINS0_10device_ptrIlEEEE19inplace_divide_by_2EElLj1EEEvT0_T1_SG_.uses_vcc, 1
	.set _ZN6thrust23THRUST_200600_302600_NS11hip_rocprim14__parallel_for6kernelILj256ENS0_6system3hip6detail17async_for_each_fnINS0_6detail15normal_iteratorINS0_10device_ptrIlEEEE19inplace_divide_by_2EElLj1EEEvT0_T1_SG_.uses_flat_scratch, 0
	.set _ZN6thrust23THRUST_200600_302600_NS11hip_rocprim14__parallel_for6kernelILj256ENS0_6system3hip6detail17async_for_each_fnINS0_6detail15normal_iteratorINS0_10device_ptrIlEEEE19inplace_divide_by_2EElLj1EEEvT0_T1_SG_.has_dyn_sized_stack, 0
	.set _ZN6thrust23THRUST_200600_302600_NS11hip_rocprim14__parallel_for6kernelILj256ENS0_6system3hip6detail17async_for_each_fnINS0_6detail15normal_iteratorINS0_10device_ptrIlEEEE19inplace_divide_by_2EElLj1EEEvT0_T1_SG_.has_recursion, 0
	.set _ZN6thrust23THRUST_200600_302600_NS11hip_rocprim14__parallel_for6kernelILj256ENS0_6system3hip6detail17async_for_each_fnINS0_6detail15normal_iteratorINS0_10device_ptrIlEEEE19inplace_divide_by_2EElLj1EEEvT0_T1_SG_.has_indirect_call, 0
	.section	.AMDGPU.csdata,"",@progbits
; Kernel info:
; codeLenInByte = 252
; TotalNumSgprs: 16
; NumVgprs: 6
; ScratchSize: 0
; MemoryBound: 0
; FloatMode: 240
; IeeeMode: 1
; LDSByteSize: 0 bytes/workgroup (compile time only)
; SGPRBlocks: 1
; VGPRBlocks: 1
; NumSGPRsForWavesPerEU: 16
; NumVGPRsForWavesPerEU: 6
; Occupancy: 10
; WaveLimiterHint : 0
; COMPUTE_PGM_RSRC2:SCRATCH_EN: 0
; COMPUTE_PGM_RSRC2:USER_SGPR: 6
; COMPUTE_PGM_RSRC2:TRAP_HANDLER: 0
; COMPUTE_PGM_RSRC2:TGID_X_EN: 1
; COMPUTE_PGM_RSRC2:TGID_Y_EN: 0
; COMPUTE_PGM_RSRC2:TGID_Z_EN: 0
; COMPUTE_PGM_RSRC2:TIDIG_COMP_CNT: 0
	.section	.text._ZN6thrust23THRUST_200600_302600_NS11hip_rocprim14__parallel_for6kernelILj256ENS0_6system3hip6detail17async_for_each_fnINS0_6detail15normal_iteratorINS0_10device_ptrImEEEE19inplace_divide_by_2EElLj1EEEvT0_T1_SG_,"axG",@progbits,_ZN6thrust23THRUST_200600_302600_NS11hip_rocprim14__parallel_for6kernelILj256ENS0_6system3hip6detail17async_for_each_fnINS0_6detail15normal_iteratorINS0_10device_ptrImEEEE19inplace_divide_by_2EElLj1EEEvT0_T1_SG_,comdat
	.protected	_ZN6thrust23THRUST_200600_302600_NS11hip_rocprim14__parallel_for6kernelILj256ENS0_6system3hip6detail17async_for_each_fnINS0_6detail15normal_iteratorINS0_10device_ptrImEEEE19inplace_divide_by_2EElLj1EEEvT0_T1_SG_ ; -- Begin function _ZN6thrust23THRUST_200600_302600_NS11hip_rocprim14__parallel_for6kernelILj256ENS0_6system3hip6detail17async_for_each_fnINS0_6detail15normal_iteratorINS0_10device_ptrImEEEE19inplace_divide_by_2EElLj1EEEvT0_T1_SG_
	.globl	_ZN6thrust23THRUST_200600_302600_NS11hip_rocprim14__parallel_for6kernelILj256ENS0_6system3hip6detail17async_for_each_fnINS0_6detail15normal_iteratorINS0_10device_ptrImEEEE19inplace_divide_by_2EElLj1EEEvT0_T1_SG_
	.p2align	8
	.type	_ZN6thrust23THRUST_200600_302600_NS11hip_rocprim14__parallel_for6kernelILj256ENS0_6system3hip6detail17async_for_each_fnINS0_6detail15normal_iteratorINS0_10device_ptrImEEEE19inplace_divide_by_2EElLj1EEEvT0_T1_SG_,@function
_ZN6thrust23THRUST_200600_302600_NS11hip_rocprim14__parallel_for6kernelILj256ENS0_6system3hip6detail17async_for_each_fnINS0_6detail15normal_iteratorINS0_10device_ptrImEEEE19inplace_divide_by_2EElLj1EEEvT0_T1_SG_: ; @_ZN6thrust23THRUST_200600_302600_NS11hip_rocprim14__parallel_for6kernelILj256ENS0_6system3hip6detail17async_for_each_fnINS0_6detail15normal_iteratorINS0_10device_ptrImEEEE19inplace_divide_by_2EElLj1EEEvT0_T1_SG_
; %bb.0:
	s_load_dwordx4 s[8:11], s[4:5], 0x10
	s_load_dwordx2 s[2:3], s[4:5], 0x0
	s_lshl_b32 s0, s6, 8
	v_mov_b32_e32 v1, 0x100
	v_mov_b32_e32 v2, 0
	s_waitcnt lgkmcnt(0)
	s_add_u32 s0, s10, s0
	s_addc_u32 s1, s11, 0
	s_sub_u32 s6, s8, s0
	s_subb_u32 s7, s9, s1
	v_cmp_lt_i64_e32 vcc, s[6:7], v[1:2]
	s_and_b64 s[4:5], vcc, exec
	s_cselect_b32 s6, s6, 0x100
	s_cmpk_eq_i32 s6, 0x100
	s_mov_b64 s[4:5], -1
	s_cbranch_scc0 .LBB8_3
; %bb.1:
	s_andn2_b64 vcc, exec, s[4:5]
	s_cbranch_vccz .LBB8_6
.LBB8_2:
	s_endpgm
.LBB8_3:
	v_cmp_gt_u32_e32 vcc, s6, v0
	s_and_saveexec_b64 s[4:5], vcc
	s_cbranch_execz .LBB8_5
; %bb.4:
	s_lshl_b64 s[6:7], s[0:1], 3
	s_add_u32 s6, s2, s6
	s_addc_u32 s7, s3, s7
	v_lshlrev_b32_e32 v1, 3, v0
	v_mov_b32_e32 v2, s7
	v_add_co_u32_e32 v1, vcc, s6, v1
	v_addc_co_u32_e32 v2, vcc, 0, v2, vcc
	flat_load_dwordx2 v[3:4], v[1:2]
	s_waitcnt vmcnt(0) lgkmcnt(0)
	v_lshrrev_b64 v[3:4], 1, v[3:4]
	flat_store_dwordx2 v[1:2], v[3:4]
.LBB8_5:
	s_or_b64 exec, exec, s[4:5]
	s_cbranch_execnz .LBB8_2
.LBB8_6:
	s_lshl_b64 s[0:1], s[0:1], 3
	s_add_u32 s0, s2, s0
	s_addc_u32 s1, s3, s1
	v_lshlrev_b32_e32 v0, 3, v0
	v_mov_b32_e32 v1, s1
	v_add_co_u32_e32 v0, vcc, s0, v0
	v_addc_co_u32_e32 v1, vcc, 0, v1, vcc
	flat_load_dwordx2 v[2:3], v[0:1]
	s_waitcnt vmcnt(0) lgkmcnt(0)
	v_lshrrev_b64 v[2:3], 1, v[2:3]
	flat_store_dwordx2 v[0:1], v[2:3]
	s_endpgm
	.section	.rodata,"a",@progbits
	.p2align	6, 0x0
	.amdhsa_kernel _ZN6thrust23THRUST_200600_302600_NS11hip_rocprim14__parallel_for6kernelILj256ENS0_6system3hip6detail17async_for_each_fnINS0_6detail15normal_iteratorINS0_10device_ptrImEEEE19inplace_divide_by_2EElLj1EEEvT0_T1_SG_
		.amdhsa_group_segment_fixed_size 0
		.amdhsa_private_segment_fixed_size 0
		.amdhsa_kernarg_size 32
		.amdhsa_user_sgpr_count 6
		.amdhsa_user_sgpr_private_segment_buffer 1
		.amdhsa_user_sgpr_dispatch_ptr 0
		.amdhsa_user_sgpr_queue_ptr 0
		.amdhsa_user_sgpr_kernarg_segment_ptr 1
		.amdhsa_user_sgpr_dispatch_id 0
		.amdhsa_user_sgpr_flat_scratch_init 0
		.amdhsa_user_sgpr_private_segment_size 0
		.amdhsa_uses_dynamic_stack 0
		.amdhsa_system_sgpr_private_segment_wavefront_offset 0
		.amdhsa_system_sgpr_workgroup_id_x 1
		.amdhsa_system_sgpr_workgroup_id_y 0
		.amdhsa_system_sgpr_workgroup_id_z 0
		.amdhsa_system_sgpr_workgroup_info 0
		.amdhsa_system_vgpr_workitem_id 0
		.amdhsa_next_free_vgpr 5
		.amdhsa_next_free_sgpr 12
		.amdhsa_reserve_vcc 1
		.amdhsa_reserve_flat_scratch 0
		.amdhsa_float_round_mode_32 0
		.amdhsa_float_round_mode_16_64 0
		.amdhsa_float_denorm_mode_32 3
		.amdhsa_float_denorm_mode_16_64 3
		.amdhsa_dx10_clamp 1
		.amdhsa_ieee_mode 1
		.amdhsa_fp16_overflow 0
		.amdhsa_exception_fp_ieee_invalid_op 0
		.amdhsa_exception_fp_denorm_src 0
		.amdhsa_exception_fp_ieee_div_zero 0
		.amdhsa_exception_fp_ieee_overflow 0
		.amdhsa_exception_fp_ieee_underflow 0
		.amdhsa_exception_fp_ieee_inexact 0
		.amdhsa_exception_int_div_zero 0
	.end_amdhsa_kernel
	.section	.text._ZN6thrust23THRUST_200600_302600_NS11hip_rocprim14__parallel_for6kernelILj256ENS0_6system3hip6detail17async_for_each_fnINS0_6detail15normal_iteratorINS0_10device_ptrImEEEE19inplace_divide_by_2EElLj1EEEvT0_T1_SG_,"axG",@progbits,_ZN6thrust23THRUST_200600_302600_NS11hip_rocprim14__parallel_for6kernelILj256ENS0_6system3hip6detail17async_for_each_fnINS0_6detail15normal_iteratorINS0_10device_ptrImEEEE19inplace_divide_by_2EElLj1EEEvT0_T1_SG_,comdat
.Lfunc_end8:
	.size	_ZN6thrust23THRUST_200600_302600_NS11hip_rocprim14__parallel_for6kernelILj256ENS0_6system3hip6detail17async_for_each_fnINS0_6detail15normal_iteratorINS0_10device_ptrImEEEE19inplace_divide_by_2EElLj1EEEvT0_T1_SG_, .Lfunc_end8-_ZN6thrust23THRUST_200600_302600_NS11hip_rocprim14__parallel_for6kernelILj256ENS0_6system3hip6detail17async_for_each_fnINS0_6detail15normal_iteratorINS0_10device_ptrImEEEE19inplace_divide_by_2EElLj1EEEvT0_T1_SG_
                                        ; -- End function
	.set _ZN6thrust23THRUST_200600_302600_NS11hip_rocprim14__parallel_for6kernelILj256ENS0_6system3hip6detail17async_for_each_fnINS0_6detail15normal_iteratorINS0_10device_ptrImEEEE19inplace_divide_by_2EElLj1EEEvT0_T1_SG_.num_vgpr, 5
	.set _ZN6thrust23THRUST_200600_302600_NS11hip_rocprim14__parallel_for6kernelILj256ENS0_6system3hip6detail17async_for_each_fnINS0_6detail15normal_iteratorINS0_10device_ptrImEEEE19inplace_divide_by_2EElLj1EEEvT0_T1_SG_.num_agpr, 0
	.set _ZN6thrust23THRUST_200600_302600_NS11hip_rocprim14__parallel_for6kernelILj256ENS0_6system3hip6detail17async_for_each_fnINS0_6detail15normal_iteratorINS0_10device_ptrImEEEE19inplace_divide_by_2EElLj1EEEvT0_T1_SG_.numbered_sgpr, 12
	.set _ZN6thrust23THRUST_200600_302600_NS11hip_rocprim14__parallel_for6kernelILj256ENS0_6system3hip6detail17async_for_each_fnINS0_6detail15normal_iteratorINS0_10device_ptrImEEEE19inplace_divide_by_2EElLj1EEEvT0_T1_SG_.num_named_barrier, 0
	.set _ZN6thrust23THRUST_200600_302600_NS11hip_rocprim14__parallel_for6kernelILj256ENS0_6system3hip6detail17async_for_each_fnINS0_6detail15normal_iteratorINS0_10device_ptrImEEEE19inplace_divide_by_2EElLj1EEEvT0_T1_SG_.private_seg_size, 0
	.set _ZN6thrust23THRUST_200600_302600_NS11hip_rocprim14__parallel_for6kernelILj256ENS0_6system3hip6detail17async_for_each_fnINS0_6detail15normal_iteratorINS0_10device_ptrImEEEE19inplace_divide_by_2EElLj1EEEvT0_T1_SG_.uses_vcc, 1
	.set _ZN6thrust23THRUST_200600_302600_NS11hip_rocprim14__parallel_for6kernelILj256ENS0_6system3hip6detail17async_for_each_fnINS0_6detail15normal_iteratorINS0_10device_ptrImEEEE19inplace_divide_by_2EElLj1EEEvT0_T1_SG_.uses_flat_scratch, 0
	.set _ZN6thrust23THRUST_200600_302600_NS11hip_rocprim14__parallel_for6kernelILj256ENS0_6system3hip6detail17async_for_each_fnINS0_6detail15normal_iteratorINS0_10device_ptrImEEEE19inplace_divide_by_2EElLj1EEEvT0_T1_SG_.has_dyn_sized_stack, 0
	.set _ZN6thrust23THRUST_200600_302600_NS11hip_rocprim14__parallel_for6kernelILj256ENS0_6system3hip6detail17async_for_each_fnINS0_6detail15normal_iteratorINS0_10device_ptrImEEEE19inplace_divide_by_2EElLj1EEEvT0_T1_SG_.has_recursion, 0
	.set _ZN6thrust23THRUST_200600_302600_NS11hip_rocprim14__parallel_for6kernelILj256ENS0_6system3hip6detail17async_for_each_fnINS0_6detail15normal_iteratorINS0_10device_ptrImEEEE19inplace_divide_by_2EElLj1EEEvT0_T1_SG_.has_indirect_call, 0
	.section	.AMDGPU.csdata,"",@progbits
; Kernel info:
; codeLenInByte = 228
; TotalNumSgprs: 16
; NumVgprs: 5
; ScratchSize: 0
; MemoryBound: 0
; FloatMode: 240
; IeeeMode: 1
; LDSByteSize: 0 bytes/workgroup (compile time only)
; SGPRBlocks: 1
; VGPRBlocks: 1
; NumSGPRsForWavesPerEU: 16
; NumVGPRsForWavesPerEU: 5
; Occupancy: 10
; WaveLimiterHint : 0
; COMPUTE_PGM_RSRC2:SCRATCH_EN: 0
; COMPUTE_PGM_RSRC2:USER_SGPR: 6
; COMPUTE_PGM_RSRC2:TRAP_HANDLER: 0
; COMPUTE_PGM_RSRC2:TGID_X_EN: 1
; COMPUTE_PGM_RSRC2:TGID_Y_EN: 0
; COMPUTE_PGM_RSRC2:TGID_Z_EN: 0
; COMPUTE_PGM_RSRC2:TIDIG_COMP_CNT: 0
	.section	.text._ZN6thrust23THRUST_200600_302600_NS11hip_rocprim14__parallel_for6kernelILj256ENS0_6system3hip6detail17async_for_each_fnINS0_6detail15normal_iteratorINS0_10device_ptrIxEEEE19inplace_divide_by_2EElLj1EEEvT0_T1_SG_,"axG",@progbits,_ZN6thrust23THRUST_200600_302600_NS11hip_rocprim14__parallel_for6kernelILj256ENS0_6system3hip6detail17async_for_each_fnINS0_6detail15normal_iteratorINS0_10device_ptrIxEEEE19inplace_divide_by_2EElLj1EEEvT0_T1_SG_,comdat
	.protected	_ZN6thrust23THRUST_200600_302600_NS11hip_rocprim14__parallel_for6kernelILj256ENS0_6system3hip6detail17async_for_each_fnINS0_6detail15normal_iteratorINS0_10device_ptrIxEEEE19inplace_divide_by_2EElLj1EEEvT0_T1_SG_ ; -- Begin function _ZN6thrust23THRUST_200600_302600_NS11hip_rocprim14__parallel_for6kernelILj256ENS0_6system3hip6detail17async_for_each_fnINS0_6detail15normal_iteratorINS0_10device_ptrIxEEEE19inplace_divide_by_2EElLj1EEEvT0_T1_SG_
	.globl	_ZN6thrust23THRUST_200600_302600_NS11hip_rocprim14__parallel_for6kernelILj256ENS0_6system3hip6detail17async_for_each_fnINS0_6detail15normal_iteratorINS0_10device_ptrIxEEEE19inplace_divide_by_2EElLj1EEEvT0_T1_SG_
	.p2align	8
	.type	_ZN6thrust23THRUST_200600_302600_NS11hip_rocprim14__parallel_for6kernelILj256ENS0_6system3hip6detail17async_for_each_fnINS0_6detail15normal_iteratorINS0_10device_ptrIxEEEE19inplace_divide_by_2EElLj1EEEvT0_T1_SG_,@function
_ZN6thrust23THRUST_200600_302600_NS11hip_rocprim14__parallel_for6kernelILj256ENS0_6system3hip6detail17async_for_each_fnINS0_6detail15normal_iteratorINS0_10device_ptrIxEEEE19inplace_divide_by_2EElLj1EEEvT0_T1_SG_: ; @_ZN6thrust23THRUST_200600_302600_NS11hip_rocprim14__parallel_for6kernelILj256ENS0_6system3hip6detail17async_for_each_fnINS0_6detail15normal_iteratorINS0_10device_ptrIxEEEE19inplace_divide_by_2EElLj1EEEvT0_T1_SG_
; %bb.0:
	s_load_dwordx4 s[8:11], s[4:5], 0x10
	s_load_dwordx2 s[2:3], s[4:5], 0x0
	s_lshl_b32 s0, s6, 8
	v_mov_b32_e32 v1, 0x100
	v_mov_b32_e32 v2, 0
	s_waitcnt lgkmcnt(0)
	s_add_u32 s0, s10, s0
	s_addc_u32 s1, s11, 0
	s_sub_u32 s6, s8, s0
	s_subb_u32 s7, s9, s1
	v_cmp_lt_i64_e32 vcc, s[6:7], v[1:2]
	s_and_b64 s[4:5], vcc, exec
	s_cselect_b32 s6, s6, 0x100
	s_cmpk_eq_i32 s6, 0x100
	s_mov_b64 s[4:5], -1
	s_cbranch_scc0 .LBB9_3
; %bb.1:
	s_andn2_b64 vcc, exec, s[4:5]
	s_cbranch_vccz .LBB9_6
.LBB9_2:
	s_endpgm
.LBB9_3:
	v_cmp_gt_u32_e32 vcc, s6, v0
	s_and_saveexec_b64 s[4:5], vcc
	s_cbranch_execz .LBB9_5
; %bb.4:
	s_lshl_b64 s[6:7], s[0:1], 3
	s_add_u32 s6, s2, s6
	s_addc_u32 s7, s3, s7
	v_lshlrev_b32_e32 v1, 3, v0
	v_mov_b32_e32 v2, s7
	v_add_co_u32_e32 v1, vcc, s6, v1
	v_addc_co_u32_e32 v2, vcc, 0, v2, vcc
	flat_load_dwordx2 v[3:4], v[1:2]
	s_waitcnt vmcnt(0) lgkmcnt(0)
	v_lshrrev_b32_e32 v5, 31, v4
	v_add_co_u32_e32 v3, vcc, v3, v5
	v_addc_co_u32_e32 v4, vcc, 0, v4, vcc
	v_ashrrev_i64 v[3:4], 1, v[3:4]
	flat_store_dwordx2 v[1:2], v[3:4]
.LBB9_5:
	s_or_b64 exec, exec, s[4:5]
	s_cbranch_execnz .LBB9_2
.LBB9_6:
	s_lshl_b64 s[0:1], s[0:1], 3
	s_add_u32 s0, s2, s0
	s_addc_u32 s1, s3, s1
	v_lshlrev_b32_e32 v0, 3, v0
	v_mov_b32_e32 v1, s1
	v_add_co_u32_e32 v0, vcc, s0, v0
	v_addc_co_u32_e32 v1, vcc, 0, v1, vcc
	flat_load_dwordx2 v[2:3], v[0:1]
	s_waitcnt vmcnt(0) lgkmcnt(0)
	v_lshrrev_b32_e32 v4, 31, v3
	v_add_co_u32_e32 v2, vcc, v2, v4
	v_addc_co_u32_e32 v3, vcc, 0, v3, vcc
	v_ashrrev_i64 v[2:3], 1, v[2:3]
	flat_store_dwordx2 v[0:1], v[2:3]
	s_endpgm
	.section	.rodata,"a",@progbits
	.p2align	6, 0x0
	.amdhsa_kernel _ZN6thrust23THRUST_200600_302600_NS11hip_rocprim14__parallel_for6kernelILj256ENS0_6system3hip6detail17async_for_each_fnINS0_6detail15normal_iteratorINS0_10device_ptrIxEEEE19inplace_divide_by_2EElLj1EEEvT0_T1_SG_
		.amdhsa_group_segment_fixed_size 0
		.amdhsa_private_segment_fixed_size 0
		.amdhsa_kernarg_size 32
		.amdhsa_user_sgpr_count 6
		.amdhsa_user_sgpr_private_segment_buffer 1
		.amdhsa_user_sgpr_dispatch_ptr 0
		.amdhsa_user_sgpr_queue_ptr 0
		.amdhsa_user_sgpr_kernarg_segment_ptr 1
		.amdhsa_user_sgpr_dispatch_id 0
		.amdhsa_user_sgpr_flat_scratch_init 0
		.amdhsa_user_sgpr_private_segment_size 0
		.amdhsa_uses_dynamic_stack 0
		.amdhsa_system_sgpr_private_segment_wavefront_offset 0
		.amdhsa_system_sgpr_workgroup_id_x 1
		.amdhsa_system_sgpr_workgroup_id_y 0
		.amdhsa_system_sgpr_workgroup_id_z 0
		.amdhsa_system_sgpr_workgroup_info 0
		.amdhsa_system_vgpr_workitem_id 0
		.amdhsa_next_free_vgpr 6
		.amdhsa_next_free_sgpr 12
		.amdhsa_reserve_vcc 1
		.amdhsa_reserve_flat_scratch 0
		.amdhsa_float_round_mode_32 0
		.amdhsa_float_round_mode_16_64 0
		.amdhsa_float_denorm_mode_32 3
		.amdhsa_float_denorm_mode_16_64 3
		.amdhsa_dx10_clamp 1
		.amdhsa_ieee_mode 1
		.amdhsa_fp16_overflow 0
		.amdhsa_exception_fp_ieee_invalid_op 0
		.amdhsa_exception_fp_denorm_src 0
		.amdhsa_exception_fp_ieee_div_zero 0
		.amdhsa_exception_fp_ieee_overflow 0
		.amdhsa_exception_fp_ieee_underflow 0
		.amdhsa_exception_fp_ieee_inexact 0
		.amdhsa_exception_int_div_zero 0
	.end_amdhsa_kernel
	.section	.text._ZN6thrust23THRUST_200600_302600_NS11hip_rocprim14__parallel_for6kernelILj256ENS0_6system3hip6detail17async_for_each_fnINS0_6detail15normal_iteratorINS0_10device_ptrIxEEEE19inplace_divide_by_2EElLj1EEEvT0_T1_SG_,"axG",@progbits,_ZN6thrust23THRUST_200600_302600_NS11hip_rocprim14__parallel_for6kernelILj256ENS0_6system3hip6detail17async_for_each_fnINS0_6detail15normal_iteratorINS0_10device_ptrIxEEEE19inplace_divide_by_2EElLj1EEEvT0_T1_SG_,comdat
.Lfunc_end9:
	.size	_ZN6thrust23THRUST_200600_302600_NS11hip_rocprim14__parallel_for6kernelILj256ENS0_6system3hip6detail17async_for_each_fnINS0_6detail15normal_iteratorINS0_10device_ptrIxEEEE19inplace_divide_by_2EElLj1EEEvT0_T1_SG_, .Lfunc_end9-_ZN6thrust23THRUST_200600_302600_NS11hip_rocprim14__parallel_for6kernelILj256ENS0_6system3hip6detail17async_for_each_fnINS0_6detail15normal_iteratorINS0_10device_ptrIxEEEE19inplace_divide_by_2EElLj1EEEvT0_T1_SG_
                                        ; -- End function
	.set _ZN6thrust23THRUST_200600_302600_NS11hip_rocprim14__parallel_for6kernelILj256ENS0_6system3hip6detail17async_for_each_fnINS0_6detail15normal_iteratorINS0_10device_ptrIxEEEE19inplace_divide_by_2EElLj1EEEvT0_T1_SG_.num_vgpr, 6
	.set _ZN6thrust23THRUST_200600_302600_NS11hip_rocprim14__parallel_for6kernelILj256ENS0_6system3hip6detail17async_for_each_fnINS0_6detail15normal_iteratorINS0_10device_ptrIxEEEE19inplace_divide_by_2EElLj1EEEvT0_T1_SG_.num_agpr, 0
	.set _ZN6thrust23THRUST_200600_302600_NS11hip_rocprim14__parallel_for6kernelILj256ENS0_6system3hip6detail17async_for_each_fnINS0_6detail15normal_iteratorINS0_10device_ptrIxEEEE19inplace_divide_by_2EElLj1EEEvT0_T1_SG_.numbered_sgpr, 12
	.set _ZN6thrust23THRUST_200600_302600_NS11hip_rocprim14__parallel_for6kernelILj256ENS0_6system3hip6detail17async_for_each_fnINS0_6detail15normal_iteratorINS0_10device_ptrIxEEEE19inplace_divide_by_2EElLj1EEEvT0_T1_SG_.num_named_barrier, 0
	.set _ZN6thrust23THRUST_200600_302600_NS11hip_rocprim14__parallel_for6kernelILj256ENS0_6system3hip6detail17async_for_each_fnINS0_6detail15normal_iteratorINS0_10device_ptrIxEEEE19inplace_divide_by_2EElLj1EEEvT0_T1_SG_.private_seg_size, 0
	.set _ZN6thrust23THRUST_200600_302600_NS11hip_rocprim14__parallel_for6kernelILj256ENS0_6system3hip6detail17async_for_each_fnINS0_6detail15normal_iteratorINS0_10device_ptrIxEEEE19inplace_divide_by_2EElLj1EEEvT0_T1_SG_.uses_vcc, 1
	.set _ZN6thrust23THRUST_200600_302600_NS11hip_rocprim14__parallel_for6kernelILj256ENS0_6system3hip6detail17async_for_each_fnINS0_6detail15normal_iteratorINS0_10device_ptrIxEEEE19inplace_divide_by_2EElLj1EEEvT0_T1_SG_.uses_flat_scratch, 0
	.set _ZN6thrust23THRUST_200600_302600_NS11hip_rocprim14__parallel_for6kernelILj256ENS0_6system3hip6detail17async_for_each_fnINS0_6detail15normal_iteratorINS0_10device_ptrIxEEEE19inplace_divide_by_2EElLj1EEEvT0_T1_SG_.has_dyn_sized_stack, 0
	.set _ZN6thrust23THRUST_200600_302600_NS11hip_rocprim14__parallel_for6kernelILj256ENS0_6system3hip6detail17async_for_each_fnINS0_6detail15normal_iteratorINS0_10device_ptrIxEEEE19inplace_divide_by_2EElLj1EEEvT0_T1_SG_.has_recursion, 0
	.set _ZN6thrust23THRUST_200600_302600_NS11hip_rocprim14__parallel_for6kernelILj256ENS0_6system3hip6detail17async_for_each_fnINS0_6detail15normal_iteratorINS0_10device_ptrIxEEEE19inplace_divide_by_2EElLj1EEEvT0_T1_SG_.has_indirect_call, 0
	.section	.AMDGPU.csdata,"",@progbits
; Kernel info:
; codeLenInByte = 252
; TotalNumSgprs: 16
; NumVgprs: 6
; ScratchSize: 0
; MemoryBound: 0
; FloatMode: 240
; IeeeMode: 1
; LDSByteSize: 0 bytes/workgroup (compile time only)
; SGPRBlocks: 1
; VGPRBlocks: 1
; NumSGPRsForWavesPerEU: 16
; NumVGPRsForWavesPerEU: 6
; Occupancy: 10
; WaveLimiterHint : 0
; COMPUTE_PGM_RSRC2:SCRATCH_EN: 0
; COMPUTE_PGM_RSRC2:USER_SGPR: 6
; COMPUTE_PGM_RSRC2:TRAP_HANDLER: 0
; COMPUTE_PGM_RSRC2:TGID_X_EN: 1
; COMPUTE_PGM_RSRC2:TGID_Y_EN: 0
; COMPUTE_PGM_RSRC2:TGID_Z_EN: 0
; COMPUTE_PGM_RSRC2:TIDIG_COMP_CNT: 0
	.section	.text._ZN6thrust23THRUST_200600_302600_NS11hip_rocprim14__parallel_for6kernelILj256ENS0_6system3hip6detail17async_for_each_fnINS0_6detail15normal_iteratorINS0_10device_ptrIyEEEE19inplace_divide_by_2EElLj1EEEvT0_T1_SG_,"axG",@progbits,_ZN6thrust23THRUST_200600_302600_NS11hip_rocprim14__parallel_for6kernelILj256ENS0_6system3hip6detail17async_for_each_fnINS0_6detail15normal_iteratorINS0_10device_ptrIyEEEE19inplace_divide_by_2EElLj1EEEvT0_T1_SG_,comdat
	.protected	_ZN6thrust23THRUST_200600_302600_NS11hip_rocprim14__parallel_for6kernelILj256ENS0_6system3hip6detail17async_for_each_fnINS0_6detail15normal_iteratorINS0_10device_ptrIyEEEE19inplace_divide_by_2EElLj1EEEvT0_T1_SG_ ; -- Begin function _ZN6thrust23THRUST_200600_302600_NS11hip_rocprim14__parallel_for6kernelILj256ENS0_6system3hip6detail17async_for_each_fnINS0_6detail15normal_iteratorINS0_10device_ptrIyEEEE19inplace_divide_by_2EElLj1EEEvT0_T1_SG_
	.globl	_ZN6thrust23THRUST_200600_302600_NS11hip_rocprim14__parallel_for6kernelILj256ENS0_6system3hip6detail17async_for_each_fnINS0_6detail15normal_iteratorINS0_10device_ptrIyEEEE19inplace_divide_by_2EElLj1EEEvT0_T1_SG_
	.p2align	8
	.type	_ZN6thrust23THRUST_200600_302600_NS11hip_rocprim14__parallel_for6kernelILj256ENS0_6system3hip6detail17async_for_each_fnINS0_6detail15normal_iteratorINS0_10device_ptrIyEEEE19inplace_divide_by_2EElLj1EEEvT0_T1_SG_,@function
_ZN6thrust23THRUST_200600_302600_NS11hip_rocprim14__parallel_for6kernelILj256ENS0_6system3hip6detail17async_for_each_fnINS0_6detail15normal_iteratorINS0_10device_ptrIyEEEE19inplace_divide_by_2EElLj1EEEvT0_T1_SG_: ; @_ZN6thrust23THRUST_200600_302600_NS11hip_rocprim14__parallel_for6kernelILj256ENS0_6system3hip6detail17async_for_each_fnINS0_6detail15normal_iteratorINS0_10device_ptrIyEEEE19inplace_divide_by_2EElLj1EEEvT0_T1_SG_
; %bb.0:
	s_load_dwordx4 s[8:11], s[4:5], 0x10
	s_load_dwordx2 s[2:3], s[4:5], 0x0
	s_lshl_b32 s0, s6, 8
	v_mov_b32_e32 v1, 0x100
	v_mov_b32_e32 v2, 0
	s_waitcnt lgkmcnt(0)
	s_add_u32 s0, s10, s0
	s_addc_u32 s1, s11, 0
	s_sub_u32 s6, s8, s0
	s_subb_u32 s7, s9, s1
	v_cmp_lt_i64_e32 vcc, s[6:7], v[1:2]
	s_and_b64 s[4:5], vcc, exec
	s_cselect_b32 s6, s6, 0x100
	s_cmpk_eq_i32 s6, 0x100
	s_mov_b64 s[4:5], -1
	s_cbranch_scc0 .LBB10_3
; %bb.1:
	s_andn2_b64 vcc, exec, s[4:5]
	s_cbranch_vccz .LBB10_6
.LBB10_2:
	s_endpgm
.LBB10_3:
	v_cmp_gt_u32_e32 vcc, s6, v0
	s_and_saveexec_b64 s[4:5], vcc
	s_cbranch_execz .LBB10_5
; %bb.4:
	s_lshl_b64 s[6:7], s[0:1], 3
	s_add_u32 s6, s2, s6
	s_addc_u32 s7, s3, s7
	v_lshlrev_b32_e32 v1, 3, v0
	v_mov_b32_e32 v2, s7
	v_add_co_u32_e32 v1, vcc, s6, v1
	v_addc_co_u32_e32 v2, vcc, 0, v2, vcc
	flat_load_dwordx2 v[3:4], v[1:2]
	s_waitcnt vmcnt(0) lgkmcnt(0)
	v_lshrrev_b64 v[3:4], 1, v[3:4]
	flat_store_dwordx2 v[1:2], v[3:4]
.LBB10_5:
	s_or_b64 exec, exec, s[4:5]
	s_cbranch_execnz .LBB10_2
.LBB10_6:
	s_lshl_b64 s[0:1], s[0:1], 3
	s_add_u32 s0, s2, s0
	s_addc_u32 s1, s3, s1
	v_lshlrev_b32_e32 v0, 3, v0
	v_mov_b32_e32 v1, s1
	v_add_co_u32_e32 v0, vcc, s0, v0
	v_addc_co_u32_e32 v1, vcc, 0, v1, vcc
	flat_load_dwordx2 v[2:3], v[0:1]
	s_waitcnt vmcnt(0) lgkmcnt(0)
	v_lshrrev_b64 v[2:3], 1, v[2:3]
	flat_store_dwordx2 v[0:1], v[2:3]
	s_endpgm
	.section	.rodata,"a",@progbits
	.p2align	6, 0x0
	.amdhsa_kernel _ZN6thrust23THRUST_200600_302600_NS11hip_rocprim14__parallel_for6kernelILj256ENS0_6system3hip6detail17async_for_each_fnINS0_6detail15normal_iteratorINS0_10device_ptrIyEEEE19inplace_divide_by_2EElLj1EEEvT0_T1_SG_
		.amdhsa_group_segment_fixed_size 0
		.amdhsa_private_segment_fixed_size 0
		.amdhsa_kernarg_size 32
		.amdhsa_user_sgpr_count 6
		.amdhsa_user_sgpr_private_segment_buffer 1
		.amdhsa_user_sgpr_dispatch_ptr 0
		.amdhsa_user_sgpr_queue_ptr 0
		.amdhsa_user_sgpr_kernarg_segment_ptr 1
		.amdhsa_user_sgpr_dispatch_id 0
		.amdhsa_user_sgpr_flat_scratch_init 0
		.amdhsa_user_sgpr_private_segment_size 0
		.amdhsa_uses_dynamic_stack 0
		.amdhsa_system_sgpr_private_segment_wavefront_offset 0
		.amdhsa_system_sgpr_workgroup_id_x 1
		.amdhsa_system_sgpr_workgroup_id_y 0
		.amdhsa_system_sgpr_workgroup_id_z 0
		.amdhsa_system_sgpr_workgroup_info 0
		.amdhsa_system_vgpr_workitem_id 0
		.amdhsa_next_free_vgpr 5
		.amdhsa_next_free_sgpr 12
		.amdhsa_reserve_vcc 1
		.amdhsa_reserve_flat_scratch 0
		.amdhsa_float_round_mode_32 0
		.amdhsa_float_round_mode_16_64 0
		.amdhsa_float_denorm_mode_32 3
		.amdhsa_float_denorm_mode_16_64 3
		.amdhsa_dx10_clamp 1
		.amdhsa_ieee_mode 1
		.amdhsa_fp16_overflow 0
		.amdhsa_exception_fp_ieee_invalid_op 0
		.amdhsa_exception_fp_denorm_src 0
		.amdhsa_exception_fp_ieee_div_zero 0
		.amdhsa_exception_fp_ieee_overflow 0
		.amdhsa_exception_fp_ieee_underflow 0
		.amdhsa_exception_fp_ieee_inexact 0
		.amdhsa_exception_int_div_zero 0
	.end_amdhsa_kernel
	.section	.text._ZN6thrust23THRUST_200600_302600_NS11hip_rocprim14__parallel_for6kernelILj256ENS0_6system3hip6detail17async_for_each_fnINS0_6detail15normal_iteratorINS0_10device_ptrIyEEEE19inplace_divide_by_2EElLj1EEEvT0_T1_SG_,"axG",@progbits,_ZN6thrust23THRUST_200600_302600_NS11hip_rocprim14__parallel_for6kernelILj256ENS0_6system3hip6detail17async_for_each_fnINS0_6detail15normal_iteratorINS0_10device_ptrIyEEEE19inplace_divide_by_2EElLj1EEEvT0_T1_SG_,comdat
.Lfunc_end10:
	.size	_ZN6thrust23THRUST_200600_302600_NS11hip_rocprim14__parallel_for6kernelILj256ENS0_6system3hip6detail17async_for_each_fnINS0_6detail15normal_iteratorINS0_10device_ptrIyEEEE19inplace_divide_by_2EElLj1EEEvT0_T1_SG_, .Lfunc_end10-_ZN6thrust23THRUST_200600_302600_NS11hip_rocprim14__parallel_for6kernelILj256ENS0_6system3hip6detail17async_for_each_fnINS0_6detail15normal_iteratorINS0_10device_ptrIyEEEE19inplace_divide_by_2EElLj1EEEvT0_T1_SG_
                                        ; -- End function
	.set _ZN6thrust23THRUST_200600_302600_NS11hip_rocprim14__parallel_for6kernelILj256ENS0_6system3hip6detail17async_for_each_fnINS0_6detail15normal_iteratorINS0_10device_ptrIyEEEE19inplace_divide_by_2EElLj1EEEvT0_T1_SG_.num_vgpr, 5
	.set _ZN6thrust23THRUST_200600_302600_NS11hip_rocprim14__parallel_for6kernelILj256ENS0_6system3hip6detail17async_for_each_fnINS0_6detail15normal_iteratorINS0_10device_ptrIyEEEE19inplace_divide_by_2EElLj1EEEvT0_T1_SG_.num_agpr, 0
	.set _ZN6thrust23THRUST_200600_302600_NS11hip_rocprim14__parallel_for6kernelILj256ENS0_6system3hip6detail17async_for_each_fnINS0_6detail15normal_iteratorINS0_10device_ptrIyEEEE19inplace_divide_by_2EElLj1EEEvT0_T1_SG_.numbered_sgpr, 12
	.set _ZN6thrust23THRUST_200600_302600_NS11hip_rocprim14__parallel_for6kernelILj256ENS0_6system3hip6detail17async_for_each_fnINS0_6detail15normal_iteratorINS0_10device_ptrIyEEEE19inplace_divide_by_2EElLj1EEEvT0_T1_SG_.num_named_barrier, 0
	.set _ZN6thrust23THRUST_200600_302600_NS11hip_rocprim14__parallel_for6kernelILj256ENS0_6system3hip6detail17async_for_each_fnINS0_6detail15normal_iteratorINS0_10device_ptrIyEEEE19inplace_divide_by_2EElLj1EEEvT0_T1_SG_.private_seg_size, 0
	.set _ZN6thrust23THRUST_200600_302600_NS11hip_rocprim14__parallel_for6kernelILj256ENS0_6system3hip6detail17async_for_each_fnINS0_6detail15normal_iteratorINS0_10device_ptrIyEEEE19inplace_divide_by_2EElLj1EEEvT0_T1_SG_.uses_vcc, 1
	.set _ZN6thrust23THRUST_200600_302600_NS11hip_rocprim14__parallel_for6kernelILj256ENS0_6system3hip6detail17async_for_each_fnINS0_6detail15normal_iteratorINS0_10device_ptrIyEEEE19inplace_divide_by_2EElLj1EEEvT0_T1_SG_.uses_flat_scratch, 0
	.set _ZN6thrust23THRUST_200600_302600_NS11hip_rocprim14__parallel_for6kernelILj256ENS0_6system3hip6detail17async_for_each_fnINS0_6detail15normal_iteratorINS0_10device_ptrIyEEEE19inplace_divide_by_2EElLj1EEEvT0_T1_SG_.has_dyn_sized_stack, 0
	.set _ZN6thrust23THRUST_200600_302600_NS11hip_rocprim14__parallel_for6kernelILj256ENS0_6system3hip6detail17async_for_each_fnINS0_6detail15normal_iteratorINS0_10device_ptrIyEEEE19inplace_divide_by_2EElLj1EEEvT0_T1_SG_.has_recursion, 0
	.set _ZN6thrust23THRUST_200600_302600_NS11hip_rocprim14__parallel_for6kernelILj256ENS0_6system3hip6detail17async_for_each_fnINS0_6detail15normal_iteratorINS0_10device_ptrIyEEEE19inplace_divide_by_2EElLj1EEEvT0_T1_SG_.has_indirect_call, 0
	.section	.AMDGPU.csdata,"",@progbits
; Kernel info:
; codeLenInByte = 228
; TotalNumSgprs: 16
; NumVgprs: 5
; ScratchSize: 0
; MemoryBound: 0
; FloatMode: 240
; IeeeMode: 1
; LDSByteSize: 0 bytes/workgroup (compile time only)
; SGPRBlocks: 1
; VGPRBlocks: 1
; NumSGPRsForWavesPerEU: 16
; NumVGPRsForWavesPerEU: 5
; Occupancy: 10
; WaveLimiterHint : 0
; COMPUTE_PGM_RSRC2:SCRATCH_EN: 0
; COMPUTE_PGM_RSRC2:USER_SGPR: 6
; COMPUTE_PGM_RSRC2:TRAP_HANDLER: 0
; COMPUTE_PGM_RSRC2:TGID_X_EN: 1
; COMPUTE_PGM_RSRC2:TGID_Y_EN: 0
; COMPUTE_PGM_RSRC2:TGID_Z_EN: 0
; COMPUTE_PGM_RSRC2:TIDIG_COMP_CNT: 0
	.section	.text._ZN6thrust23THRUST_200600_302600_NS11hip_rocprim14__parallel_for6kernelILj256ENS0_6system3hip6detail17async_for_each_fnINS0_6detail15normal_iteratorINS0_10device_ptrIfEEEE19inplace_divide_by_2EElLj1EEEvT0_T1_SG_,"axG",@progbits,_ZN6thrust23THRUST_200600_302600_NS11hip_rocprim14__parallel_for6kernelILj256ENS0_6system3hip6detail17async_for_each_fnINS0_6detail15normal_iteratorINS0_10device_ptrIfEEEE19inplace_divide_by_2EElLj1EEEvT0_T1_SG_,comdat
	.protected	_ZN6thrust23THRUST_200600_302600_NS11hip_rocprim14__parallel_for6kernelILj256ENS0_6system3hip6detail17async_for_each_fnINS0_6detail15normal_iteratorINS0_10device_ptrIfEEEE19inplace_divide_by_2EElLj1EEEvT0_T1_SG_ ; -- Begin function _ZN6thrust23THRUST_200600_302600_NS11hip_rocprim14__parallel_for6kernelILj256ENS0_6system3hip6detail17async_for_each_fnINS0_6detail15normal_iteratorINS0_10device_ptrIfEEEE19inplace_divide_by_2EElLj1EEEvT0_T1_SG_
	.globl	_ZN6thrust23THRUST_200600_302600_NS11hip_rocprim14__parallel_for6kernelILj256ENS0_6system3hip6detail17async_for_each_fnINS0_6detail15normal_iteratorINS0_10device_ptrIfEEEE19inplace_divide_by_2EElLj1EEEvT0_T1_SG_
	.p2align	8
	.type	_ZN6thrust23THRUST_200600_302600_NS11hip_rocprim14__parallel_for6kernelILj256ENS0_6system3hip6detail17async_for_each_fnINS0_6detail15normal_iteratorINS0_10device_ptrIfEEEE19inplace_divide_by_2EElLj1EEEvT0_T1_SG_,@function
_ZN6thrust23THRUST_200600_302600_NS11hip_rocprim14__parallel_for6kernelILj256ENS0_6system3hip6detail17async_for_each_fnINS0_6detail15normal_iteratorINS0_10device_ptrIfEEEE19inplace_divide_by_2EElLj1EEEvT0_T1_SG_: ; @_ZN6thrust23THRUST_200600_302600_NS11hip_rocprim14__parallel_for6kernelILj256ENS0_6system3hip6detail17async_for_each_fnINS0_6detail15normal_iteratorINS0_10device_ptrIfEEEE19inplace_divide_by_2EElLj1EEEvT0_T1_SG_
; %bb.0:
	s_load_dwordx4 s[8:11], s[4:5], 0x10
	s_load_dwordx2 s[2:3], s[4:5], 0x0
	s_lshl_b32 s0, s6, 8
	v_mov_b32_e32 v1, 0x100
	v_mov_b32_e32 v2, 0
	s_waitcnt lgkmcnt(0)
	s_add_u32 s0, s10, s0
	s_addc_u32 s1, s11, 0
	s_sub_u32 s6, s8, s0
	s_subb_u32 s7, s9, s1
	v_cmp_lt_i64_e32 vcc, s[6:7], v[1:2]
	s_and_b64 s[4:5], vcc, exec
	s_cselect_b32 s6, s6, 0x100
	s_cmpk_eq_i32 s6, 0x100
	s_mov_b64 s[4:5], -1
	s_cbranch_scc0 .LBB11_3
; %bb.1:
	s_andn2_b64 vcc, exec, s[4:5]
	s_cbranch_vccz .LBB11_6
.LBB11_2:
	s_endpgm
.LBB11_3:
	v_cmp_gt_u32_e32 vcc, s6, v0
	s_and_saveexec_b64 s[4:5], vcc
	s_cbranch_execz .LBB11_5
; %bb.4:
	s_lshl_b64 s[6:7], s[0:1], 2
	s_add_u32 s6, s2, s6
	s_addc_u32 s7, s3, s7
	v_lshlrev_b32_e32 v1, 2, v0
	v_mov_b32_e32 v2, s7
	v_add_co_u32_e32 v1, vcc, s6, v1
	v_addc_co_u32_e32 v2, vcc, 0, v2, vcc
	flat_load_dword v3, v[1:2]
	s_waitcnt vmcnt(0) lgkmcnt(0)
	v_mul_f32_e32 v3, 0.5, v3
	flat_store_dword v[1:2], v3
.LBB11_5:
	s_or_b64 exec, exec, s[4:5]
	s_cbranch_execnz .LBB11_2
.LBB11_6:
	s_lshl_b64 s[0:1], s[0:1], 2
	s_add_u32 s0, s2, s0
	s_addc_u32 s1, s3, s1
	v_lshlrev_b32_e32 v0, 2, v0
	v_mov_b32_e32 v1, s1
	v_add_co_u32_e32 v0, vcc, s0, v0
	v_addc_co_u32_e32 v1, vcc, 0, v1, vcc
	flat_load_dword v2, v[0:1]
	s_waitcnt vmcnt(0) lgkmcnt(0)
	v_mul_f32_e32 v2, 0.5, v2
	flat_store_dword v[0:1], v2
	s_endpgm
	.section	.rodata,"a",@progbits
	.p2align	6, 0x0
	.amdhsa_kernel _ZN6thrust23THRUST_200600_302600_NS11hip_rocprim14__parallel_for6kernelILj256ENS0_6system3hip6detail17async_for_each_fnINS0_6detail15normal_iteratorINS0_10device_ptrIfEEEE19inplace_divide_by_2EElLj1EEEvT0_T1_SG_
		.amdhsa_group_segment_fixed_size 0
		.amdhsa_private_segment_fixed_size 0
		.amdhsa_kernarg_size 32
		.amdhsa_user_sgpr_count 6
		.amdhsa_user_sgpr_private_segment_buffer 1
		.amdhsa_user_sgpr_dispatch_ptr 0
		.amdhsa_user_sgpr_queue_ptr 0
		.amdhsa_user_sgpr_kernarg_segment_ptr 1
		.amdhsa_user_sgpr_dispatch_id 0
		.amdhsa_user_sgpr_flat_scratch_init 0
		.amdhsa_user_sgpr_private_segment_size 0
		.amdhsa_uses_dynamic_stack 0
		.amdhsa_system_sgpr_private_segment_wavefront_offset 0
		.amdhsa_system_sgpr_workgroup_id_x 1
		.amdhsa_system_sgpr_workgroup_id_y 0
		.amdhsa_system_sgpr_workgroup_id_z 0
		.amdhsa_system_sgpr_workgroup_info 0
		.amdhsa_system_vgpr_workitem_id 0
		.amdhsa_next_free_vgpr 4
		.amdhsa_next_free_sgpr 12
		.amdhsa_reserve_vcc 1
		.amdhsa_reserve_flat_scratch 0
		.amdhsa_float_round_mode_32 0
		.amdhsa_float_round_mode_16_64 0
		.amdhsa_float_denorm_mode_32 3
		.amdhsa_float_denorm_mode_16_64 3
		.amdhsa_dx10_clamp 1
		.amdhsa_ieee_mode 1
		.amdhsa_fp16_overflow 0
		.amdhsa_exception_fp_ieee_invalid_op 0
		.amdhsa_exception_fp_denorm_src 0
		.amdhsa_exception_fp_ieee_div_zero 0
		.amdhsa_exception_fp_ieee_overflow 0
		.amdhsa_exception_fp_ieee_underflow 0
		.amdhsa_exception_fp_ieee_inexact 0
		.amdhsa_exception_int_div_zero 0
	.end_amdhsa_kernel
	.section	.text._ZN6thrust23THRUST_200600_302600_NS11hip_rocprim14__parallel_for6kernelILj256ENS0_6system3hip6detail17async_for_each_fnINS0_6detail15normal_iteratorINS0_10device_ptrIfEEEE19inplace_divide_by_2EElLj1EEEvT0_T1_SG_,"axG",@progbits,_ZN6thrust23THRUST_200600_302600_NS11hip_rocprim14__parallel_for6kernelILj256ENS0_6system3hip6detail17async_for_each_fnINS0_6detail15normal_iteratorINS0_10device_ptrIfEEEE19inplace_divide_by_2EElLj1EEEvT0_T1_SG_,comdat
.Lfunc_end11:
	.size	_ZN6thrust23THRUST_200600_302600_NS11hip_rocprim14__parallel_for6kernelILj256ENS0_6system3hip6detail17async_for_each_fnINS0_6detail15normal_iteratorINS0_10device_ptrIfEEEE19inplace_divide_by_2EElLj1EEEvT0_T1_SG_, .Lfunc_end11-_ZN6thrust23THRUST_200600_302600_NS11hip_rocprim14__parallel_for6kernelILj256ENS0_6system3hip6detail17async_for_each_fnINS0_6detail15normal_iteratorINS0_10device_ptrIfEEEE19inplace_divide_by_2EElLj1EEEvT0_T1_SG_
                                        ; -- End function
	.set _ZN6thrust23THRUST_200600_302600_NS11hip_rocprim14__parallel_for6kernelILj256ENS0_6system3hip6detail17async_for_each_fnINS0_6detail15normal_iteratorINS0_10device_ptrIfEEEE19inplace_divide_by_2EElLj1EEEvT0_T1_SG_.num_vgpr, 4
	.set _ZN6thrust23THRUST_200600_302600_NS11hip_rocprim14__parallel_for6kernelILj256ENS0_6system3hip6detail17async_for_each_fnINS0_6detail15normal_iteratorINS0_10device_ptrIfEEEE19inplace_divide_by_2EElLj1EEEvT0_T1_SG_.num_agpr, 0
	.set _ZN6thrust23THRUST_200600_302600_NS11hip_rocprim14__parallel_for6kernelILj256ENS0_6system3hip6detail17async_for_each_fnINS0_6detail15normal_iteratorINS0_10device_ptrIfEEEE19inplace_divide_by_2EElLj1EEEvT0_T1_SG_.numbered_sgpr, 12
	.set _ZN6thrust23THRUST_200600_302600_NS11hip_rocprim14__parallel_for6kernelILj256ENS0_6system3hip6detail17async_for_each_fnINS0_6detail15normal_iteratorINS0_10device_ptrIfEEEE19inplace_divide_by_2EElLj1EEEvT0_T1_SG_.num_named_barrier, 0
	.set _ZN6thrust23THRUST_200600_302600_NS11hip_rocprim14__parallel_for6kernelILj256ENS0_6system3hip6detail17async_for_each_fnINS0_6detail15normal_iteratorINS0_10device_ptrIfEEEE19inplace_divide_by_2EElLj1EEEvT0_T1_SG_.private_seg_size, 0
	.set _ZN6thrust23THRUST_200600_302600_NS11hip_rocprim14__parallel_for6kernelILj256ENS0_6system3hip6detail17async_for_each_fnINS0_6detail15normal_iteratorINS0_10device_ptrIfEEEE19inplace_divide_by_2EElLj1EEEvT0_T1_SG_.uses_vcc, 1
	.set _ZN6thrust23THRUST_200600_302600_NS11hip_rocprim14__parallel_for6kernelILj256ENS0_6system3hip6detail17async_for_each_fnINS0_6detail15normal_iteratorINS0_10device_ptrIfEEEE19inplace_divide_by_2EElLj1EEEvT0_T1_SG_.uses_flat_scratch, 0
	.set _ZN6thrust23THRUST_200600_302600_NS11hip_rocprim14__parallel_for6kernelILj256ENS0_6system3hip6detail17async_for_each_fnINS0_6detail15normal_iteratorINS0_10device_ptrIfEEEE19inplace_divide_by_2EElLj1EEEvT0_T1_SG_.has_dyn_sized_stack, 0
	.set _ZN6thrust23THRUST_200600_302600_NS11hip_rocprim14__parallel_for6kernelILj256ENS0_6system3hip6detail17async_for_each_fnINS0_6detail15normal_iteratorINS0_10device_ptrIfEEEE19inplace_divide_by_2EElLj1EEEvT0_T1_SG_.has_recursion, 0
	.set _ZN6thrust23THRUST_200600_302600_NS11hip_rocprim14__parallel_for6kernelILj256ENS0_6system3hip6detail17async_for_each_fnINS0_6detail15normal_iteratorINS0_10device_ptrIfEEEE19inplace_divide_by_2EElLj1EEEvT0_T1_SG_.has_indirect_call, 0
	.section	.AMDGPU.csdata,"",@progbits
; Kernel info:
; codeLenInByte = 220
; TotalNumSgprs: 16
; NumVgprs: 4
; ScratchSize: 0
; MemoryBound: 0
; FloatMode: 240
; IeeeMode: 1
; LDSByteSize: 0 bytes/workgroup (compile time only)
; SGPRBlocks: 1
; VGPRBlocks: 0
; NumSGPRsForWavesPerEU: 16
; NumVGPRsForWavesPerEU: 4
; Occupancy: 10
; WaveLimiterHint : 0
; COMPUTE_PGM_RSRC2:SCRATCH_EN: 0
; COMPUTE_PGM_RSRC2:USER_SGPR: 6
; COMPUTE_PGM_RSRC2:TRAP_HANDLER: 0
; COMPUTE_PGM_RSRC2:TGID_X_EN: 1
; COMPUTE_PGM_RSRC2:TGID_Y_EN: 0
; COMPUTE_PGM_RSRC2:TGID_Z_EN: 0
; COMPUTE_PGM_RSRC2:TIDIG_COMP_CNT: 0
	.section	.text._ZN6thrust23THRUST_200600_302600_NS11hip_rocprim14__parallel_for6kernelILj256ENS0_6system3hip6detail17async_for_each_fnINS0_6detail15normal_iteratorINS0_10device_ptrIdEEEE19inplace_divide_by_2EElLj1EEEvT0_T1_SG_,"axG",@progbits,_ZN6thrust23THRUST_200600_302600_NS11hip_rocprim14__parallel_for6kernelILj256ENS0_6system3hip6detail17async_for_each_fnINS0_6detail15normal_iteratorINS0_10device_ptrIdEEEE19inplace_divide_by_2EElLj1EEEvT0_T1_SG_,comdat
	.protected	_ZN6thrust23THRUST_200600_302600_NS11hip_rocprim14__parallel_for6kernelILj256ENS0_6system3hip6detail17async_for_each_fnINS0_6detail15normal_iteratorINS0_10device_ptrIdEEEE19inplace_divide_by_2EElLj1EEEvT0_T1_SG_ ; -- Begin function _ZN6thrust23THRUST_200600_302600_NS11hip_rocprim14__parallel_for6kernelILj256ENS0_6system3hip6detail17async_for_each_fnINS0_6detail15normal_iteratorINS0_10device_ptrIdEEEE19inplace_divide_by_2EElLj1EEEvT0_T1_SG_
	.globl	_ZN6thrust23THRUST_200600_302600_NS11hip_rocprim14__parallel_for6kernelILj256ENS0_6system3hip6detail17async_for_each_fnINS0_6detail15normal_iteratorINS0_10device_ptrIdEEEE19inplace_divide_by_2EElLj1EEEvT0_T1_SG_
	.p2align	8
	.type	_ZN6thrust23THRUST_200600_302600_NS11hip_rocprim14__parallel_for6kernelILj256ENS0_6system3hip6detail17async_for_each_fnINS0_6detail15normal_iteratorINS0_10device_ptrIdEEEE19inplace_divide_by_2EElLj1EEEvT0_T1_SG_,@function
_ZN6thrust23THRUST_200600_302600_NS11hip_rocprim14__parallel_for6kernelILj256ENS0_6system3hip6detail17async_for_each_fnINS0_6detail15normal_iteratorINS0_10device_ptrIdEEEE19inplace_divide_by_2EElLj1EEEvT0_T1_SG_: ; @_ZN6thrust23THRUST_200600_302600_NS11hip_rocprim14__parallel_for6kernelILj256ENS0_6system3hip6detail17async_for_each_fnINS0_6detail15normal_iteratorINS0_10device_ptrIdEEEE19inplace_divide_by_2EElLj1EEEvT0_T1_SG_
; %bb.0:
	s_load_dwordx4 s[8:11], s[4:5], 0x10
	s_load_dwordx2 s[2:3], s[4:5], 0x0
	s_lshl_b32 s0, s6, 8
	v_mov_b32_e32 v1, 0x100
	v_mov_b32_e32 v2, 0
	s_waitcnt lgkmcnt(0)
	s_add_u32 s0, s10, s0
	s_addc_u32 s1, s11, 0
	s_sub_u32 s6, s8, s0
	s_subb_u32 s7, s9, s1
	v_cmp_lt_i64_e32 vcc, s[6:7], v[1:2]
	s_and_b64 s[4:5], vcc, exec
	s_cselect_b32 s6, s6, 0x100
	s_cmpk_eq_i32 s6, 0x100
	s_mov_b64 s[4:5], -1
	s_cbranch_scc0 .LBB12_3
; %bb.1:
	s_andn2_b64 vcc, exec, s[4:5]
	s_cbranch_vccz .LBB12_6
.LBB12_2:
	s_endpgm
.LBB12_3:
	v_cmp_gt_u32_e32 vcc, s6, v0
	s_and_saveexec_b64 s[4:5], vcc
	s_cbranch_execz .LBB12_5
; %bb.4:
	s_lshl_b64 s[6:7], s[0:1], 3
	s_add_u32 s6, s2, s6
	s_addc_u32 s7, s3, s7
	v_lshlrev_b32_e32 v1, 3, v0
	v_mov_b32_e32 v2, s7
	v_add_co_u32_e32 v1, vcc, s6, v1
	v_addc_co_u32_e32 v2, vcc, 0, v2, vcc
	flat_load_dwordx2 v[3:4], v[1:2]
	s_waitcnt vmcnt(0) lgkmcnt(0)
	v_mul_f64 v[3:4], v[3:4], 0.5
	flat_store_dwordx2 v[1:2], v[3:4]
.LBB12_5:
	s_or_b64 exec, exec, s[4:5]
	s_cbranch_execnz .LBB12_2
.LBB12_6:
	s_lshl_b64 s[0:1], s[0:1], 3
	s_add_u32 s0, s2, s0
	s_addc_u32 s1, s3, s1
	v_lshlrev_b32_e32 v0, 3, v0
	v_mov_b32_e32 v1, s1
	v_add_co_u32_e32 v0, vcc, s0, v0
	v_addc_co_u32_e32 v1, vcc, 0, v1, vcc
	flat_load_dwordx2 v[2:3], v[0:1]
	s_waitcnt vmcnt(0) lgkmcnt(0)
	v_mul_f64 v[2:3], v[2:3], 0.5
	flat_store_dwordx2 v[0:1], v[2:3]
	s_endpgm
	.section	.rodata,"a",@progbits
	.p2align	6, 0x0
	.amdhsa_kernel _ZN6thrust23THRUST_200600_302600_NS11hip_rocprim14__parallel_for6kernelILj256ENS0_6system3hip6detail17async_for_each_fnINS0_6detail15normal_iteratorINS0_10device_ptrIdEEEE19inplace_divide_by_2EElLj1EEEvT0_T1_SG_
		.amdhsa_group_segment_fixed_size 0
		.amdhsa_private_segment_fixed_size 0
		.amdhsa_kernarg_size 32
		.amdhsa_user_sgpr_count 6
		.amdhsa_user_sgpr_private_segment_buffer 1
		.amdhsa_user_sgpr_dispatch_ptr 0
		.amdhsa_user_sgpr_queue_ptr 0
		.amdhsa_user_sgpr_kernarg_segment_ptr 1
		.amdhsa_user_sgpr_dispatch_id 0
		.amdhsa_user_sgpr_flat_scratch_init 0
		.amdhsa_user_sgpr_private_segment_size 0
		.amdhsa_uses_dynamic_stack 0
		.amdhsa_system_sgpr_private_segment_wavefront_offset 0
		.amdhsa_system_sgpr_workgroup_id_x 1
		.amdhsa_system_sgpr_workgroup_id_y 0
		.amdhsa_system_sgpr_workgroup_id_z 0
		.amdhsa_system_sgpr_workgroup_info 0
		.amdhsa_system_vgpr_workitem_id 0
		.amdhsa_next_free_vgpr 5
		.amdhsa_next_free_sgpr 12
		.amdhsa_reserve_vcc 1
		.amdhsa_reserve_flat_scratch 0
		.amdhsa_float_round_mode_32 0
		.amdhsa_float_round_mode_16_64 0
		.amdhsa_float_denorm_mode_32 3
		.amdhsa_float_denorm_mode_16_64 3
		.amdhsa_dx10_clamp 1
		.amdhsa_ieee_mode 1
		.amdhsa_fp16_overflow 0
		.amdhsa_exception_fp_ieee_invalid_op 0
		.amdhsa_exception_fp_denorm_src 0
		.amdhsa_exception_fp_ieee_div_zero 0
		.amdhsa_exception_fp_ieee_overflow 0
		.amdhsa_exception_fp_ieee_underflow 0
		.amdhsa_exception_fp_ieee_inexact 0
		.amdhsa_exception_int_div_zero 0
	.end_amdhsa_kernel
	.section	.text._ZN6thrust23THRUST_200600_302600_NS11hip_rocprim14__parallel_for6kernelILj256ENS0_6system3hip6detail17async_for_each_fnINS0_6detail15normal_iteratorINS0_10device_ptrIdEEEE19inplace_divide_by_2EElLj1EEEvT0_T1_SG_,"axG",@progbits,_ZN6thrust23THRUST_200600_302600_NS11hip_rocprim14__parallel_for6kernelILj256ENS0_6system3hip6detail17async_for_each_fnINS0_6detail15normal_iteratorINS0_10device_ptrIdEEEE19inplace_divide_by_2EElLj1EEEvT0_T1_SG_,comdat
.Lfunc_end12:
	.size	_ZN6thrust23THRUST_200600_302600_NS11hip_rocprim14__parallel_for6kernelILj256ENS0_6system3hip6detail17async_for_each_fnINS0_6detail15normal_iteratorINS0_10device_ptrIdEEEE19inplace_divide_by_2EElLj1EEEvT0_T1_SG_, .Lfunc_end12-_ZN6thrust23THRUST_200600_302600_NS11hip_rocprim14__parallel_for6kernelILj256ENS0_6system3hip6detail17async_for_each_fnINS0_6detail15normal_iteratorINS0_10device_ptrIdEEEE19inplace_divide_by_2EElLj1EEEvT0_T1_SG_
                                        ; -- End function
	.set _ZN6thrust23THRUST_200600_302600_NS11hip_rocprim14__parallel_for6kernelILj256ENS0_6system3hip6detail17async_for_each_fnINS0_6detail15normal_iteratorINS0_10device_ptrIdEEEE19inplace_divide_by_2EElLj1EEEvT0_T1_SG_.num_vgpr, 5
	.set _ZN6thrust23THRUST_200600_302600_NS11hip_rocprim14__parallel_for6kernelILj256ENS0_6system3hip6detail17async_for_each_fnINS0_6detail15normal_iteratorINS0_10device_ptrIdEEEE19inplace_divide_by_2EElLj1EEEvT0_T1_SG_.num_agpr, 0
	.set _ZN6thrust23THRUST_200600_302600_NS11hip_rocprim14__parallel_for6kernelILj256ENS0_6system3hip6detail17async_for_each_fnINS0_6detail15normal_iteratorINS0_10device_ptrIdEEEE19inplace_divide_by_2EElLj1EEEvT0_T1_SG_.numbered_sgpr, 12
	.set _ZN6thrust23THRUST_200600_302600_NS11hip_rocprim14__parallel_for6kernelILj256ENS0_6system3hip6detail17async_for_each_fnINS0_6detail15normal_iteratorINS0_10device_ptrIdEEEE19inplace_divide_by_2EElLj1EEEvT0_T1_SG_.num_named_barrier, 0
	.set _ZN6thrust23THRUST_200600_302600_NS11hip_rocprim14__parallel_for6kernelILj256ENS0_6system3hip6detail17async_for_each_fnINS0_6detail15normal_iteratorINS0_10device_ptrIdEEEE19inplace_divide_by_2EElLj1EEEvT0_T1_SG_.private_seg_size, 0
	.set _ZN6thrust23THRUST_200600_302600_NS11hip_rocprim14__parallel_for6kernelILj256ENS0_6system3hip6detail17async_for_each_fnINS0_6detail15normal_iteratorINS0_10device_ptrIdEEEE19inplace_divide_by_2EElLj1EEEvT0_T1_SG_.uses_vcc, 1
	.set _ZN6thrust23THRUST_200600_302600_NS11hip_rocprim14__parallel_for6kernelILj256ENS0_6system3hip6detail17async_for_each_fnINS0_6detail15normal_iteratorINS0_10device_ptrIdEEEE19inplace_divide_by_2EElLj1EEEvT0_T1_SG_.uses_flat_scratch, 0
	.set _ZN6thrust23THRUST_200600_302600_NS11hip_rocprim14__parallel_for6kernelILj256ENS0_6system3hip6detail17async_for_each_fnINS0_6detail15normal_iteratorINS0_10device_ptrIdEEEE19inplace_divide_by_2EElLj1EEEvT0_T1_SG_.has_dyn_sized_stack, 0
	.set _ZN6thrust23THRUST_200600_302600_NS11hip_rocprim14__parallel_for6kernelILj256ENS0_6system3hip6detail17async_for_each_fnINS0_6detail15normal_iteratorINS0_10device_ptrIdEEEE19inplace_divide_by_2EElLj1EEEvT0_T1_SG_.has_recursion, 0
	.set _ZN6thrust23THRUST_200600_302600_NS11hip_rocprim14__parallel_for6kernelILj256ENS0_6system3hip6detail17async_for_each_fnINS0_6detail15normal_iteratorINS0_10device_ptrIdEEEE19inplace_divide_by_2EElLj1EEEvT0_T1_SG_.has_indirect_call, 0
	.section	.AMDGPU.csdata,"",@progbits
; Kernel info:
; codeLenInByte = 228
; TotalNumSgprs: 16
; NumVgprs: 5
; ScratchSize: 0
; MemoryBound: 0
; FloatMode: 240
; IeeeMode: 1
; LDSByteSize: 0 bytes/workgroup (compile time only)
; SGPRBlocks: 1
; VGPRBlocks: 1
; NumSGPRsForWavesPerEU: 16
; NumVGPRsForWavesPerEU: 5
; Occupancy: 10
; WaveLimiterHint : 0
; COMPUTE_PGM_RSRC2:SCRATCH_EN: 0
; COMPUTE_PGM_RSRC2:USER_SGPR: 6
; COMPUTE_PGM_RSRC2:TRAP_HANDLER: 0
; COMPUTE_PGM_RSRC2:TGID_X_EN: 1
; COMPUTE_PGM_RSRC2:TGID_Y_EN: 0
; COMPUTE_PGM_RSRC2:TGID_Z_EN: 0
; COMPUTE_PGM_RSRC2:TIDIG_COMP_CNT: 0
	.section	.text._ZN6thrust23THRUST_200600_302600_NS11hip_rocprim14__parallel_for6kernelILj256ENS1_10for_each_fINS0_7pointerI14custom_numericNS1_3tagENS0_11use_defaultES8_EENS0_6detail16wrapped_functionINSA_23allocator_traits_detail24construct1_via_allocatorINSA_18no_throw_allocatorINSA_19temporary_allocatorIS6_S7_EEEEEEvEEEEmLj1EEEvT0_T1_SM_,"axG",@progbits,_ZN6thrust23THRUST_200600_302600_NS11hip_rocprim14__parallel_for6kernelILj256ENS1_10for_each_fINS0_7pointerI14custom_numericNS1_3tagENS0_11use_defaultES8_EENS0_6detail16wrapped_functionINSA_23allocator_traits_detail24construct1_via_allocatorINSA_18no_throw_allocatorINSA_19temporary_allocatorIS6_S7_EEEEEEvEEEEmLj1EEEvT0_T1_SM_,comdat
	.protected	_ZN6thrust23THRUST_200600_302600_NS11hip_rocprim14__parallel_for6kernelILj256ENS1_10for_each_fINS0_7pointerI14custom_numericNS1_3tagENS0_11use_defaultES8_EENS0_6detail16wrapped_functionINSA_23allocator_traits_detail24construct1_via_allocatorINSA_18no_throw_allocatorINSA_19temporary_allocatorIS6_S7_EEEEEEvEEEEmLj1EEEvT0_T1_SM_ ; -- Begin function _ZN6thrust23THRUST_200600_302600_NS11hip_rocprim14__parallel_for6kernelILj256ENS1_10for_each_fINS0_7pointerI14custom_numericNS1_3tagENS0_11use_defaultES8_EENS0_6detail16wrapped_functionINSA_23allocator_traits_detail24construct1_via_allocatorINSA_18no_throw_allocatorINSA_19temporary_allocatorIS6_S7_EEEEEEvEEEEmLj1EEEvT0_T1_SM_
	.globl	_ZN6thrust23THRUST_200600_302600_NS11hip_rocprim14__parallel_for6kernelILj256ENS1_10for_each_fINS0_7pointerI14custom_numericNS1_3tagENS0_11use_defaultES8_EENS0_6detail16wrapped_functionINSA_23allocator_traits_detail24construct1_via_allocatorINSA_18no_throw_allocatorINSA_19temporary_allocatorIS6_S7_EEEEEEvEEEEmLj1EEEvT0_T1_SM_
	.p2align	8
	.type	_ZN6thrust23THRUST_200600_302600_NS11hip_rocprim14__parallel_for6kernelILj256ENS1_10for_each_fINS0_7pointerI14custom_numericNS1_3tagENS0_11use_defaultES8_EENS0_6detail16wrapped_functionINSA_23allocator_traits_detail24construct1_via_allocatorINSA_18no_throw_allocatorINSA_19temporary_allocatorIS6_S7_EEEEEEvEEEEmLj1EEEvT0_T1_SM_,@function
_ZN6thrust23THRUST_200600_302600_NS11hip_rocprim14__parallel_for6kernelILj256ENS1_10for_each_fINS0_7pointerI14custom_numericNS1_3tagENS0_11use_defaultES8_EENS0_6detail16wrapped_functionINSA_23allocator_traits_detail24construct1_via_allocatorINSA_18no_throw_allocatorINSA_19temporary_allocatorIS6_S7_EEEEEEvEEEEmLj1EEEvT0_T1_SM_: ; @_ZN6thrust23THRUST_200600_302600_NS11hip_rocprim14__parallel_for6kernelILj256ENS1_10for_each_fINS0_7pointerI14custom_numericNS1_3tagENS0_11use_defaultES8_EENS0_6detail16wrapped_functionINSA_23allocator_traits_detail24construct1_via_allocatorINSA_18no_throw_allocatorINSA_19temporary_allocatorIS6_S7_EEEEEEvEEEEmLj1EEEvT0_T1_SM_
; %bb.0:
	s_load_dwordx4 s[8:11], s[4:5], 0x10
	s_load_dwordx2 s[0:1], s[4:5], 0x0
	s_lshl_b32 s2, s6, 8
	v_mov_b32_e32 v1, 0xff
	v_mov_b32_e32 v2, 0
	s_waitcnt lgkmcnt(0)
	s_add_u32 s6, s10, s2
	s_addc_u32 s7, s11, 0
	s_sub_u32 s2, s8, s6
	s_subb_u32 s3, s9, s7
	v_cmp_gt_u64_e32 vcc, s[2:3], v[1:2]
	s_mov_b64 s[4:5], -1
	s_cbranch_vccz .LBB13_3
; %bb.1:
	s_andn2_b64 vcc, exec, s[4:5]
	s_cbranch_vccz .LBB13_6
.LBB13_2:
	s_endpgm
.LBB13_3:
	v_cmp_gt_u32_e32 vcc, s2, v0
	s_and_saveexec_b64 s[2:3], vcc
	s_cbranch_execz .LBB13_5
; %bb.4:
	s_mul_i32 s4, s7, 20
	s_mul_hi_u32 s5, s6, 20
	s_add_i32 s5, s5, s4
	s_mul_i32 s4, s6, 20
	s_add_u32 s4, s0, s4
	s_addc_u32 s5, s1, s5
	v_mad_u64_u32 v[5:6], s[4:5], v0, 20, s[4:5]
	v_mov_b32_e32 v1, 0
	v_mov_b32_e32 v2, v1
	;; [unrolled: 1-line block ×4, first 2 shown]
	flat_store_dwordx4 v[5:6], v[1:4]
	flat_store_dword v[5:6], v1 offset:16
.LBB13_5:
	s_or_b64 exec, exec, s[2:3]
	s_cbranch_execnz .LBB13_2
.LBB13_6:
	s_mul_i32 s7, s7, 20
	s_mul_hi_u32 s2, s6, 20
	s_add_i32 s2, s2, s7
	s_mul_i32 s6, s6, 20
	s_add_u32 s0, s0, s6
	s_addc_u32 s1, s1, s2
	v_mad_u64_u32 v[4:5], s[0:1], v0, 20, s[0:1]
	v_mov_b32_e32 v0, 0
	v_mov_b32_e32 v1, v0
	;; [unrolled: 1-line block ×4, first 2 shown]
	flat_store_dwordx4 v[4:5], v[0:3]
	flat_store_dword v[4:5], v0 offset:16
	s_endpgm
	.section	.rodata,"a",@progbits
	.p2align	6, 0x0
	.amdhsa_kernel _ZN6thrust23THRUST_200600_302600_NS11hip_rocprim14__parallel_for6kernelILj256ENS1_10for_each_fINS0_7pointerI14custom_numericNS1_3tagENS0_11use_defaultES8_EENS0_6detail16wrapped_functionINSA_23allocator_traits_detail24construct1_via_allocatorINSA_18no_throw_allocatorINSA_19temporary_allocatorIS6_S7_EEEEEEvEEEEmLj1EEEvT0_T1_SM_
		.amdhsa_group_segment_fixed_size 0
		.amdhsa_private_segment_fixed_size 0
		.amdhsa_kernarg_size 32
		.amdhsa_user_sgpr_count 6
		.amdhsa_user_sgpr_private_segment_buffer 1
		.amdhsa_user_sgpr_dispatch_ptr 0
		.amdhsa_user_sgpr_queue_ptr 0
		.amdhsa_user_sgpr_kernarg_segment_ptr 1
		.amdhsa_user_sgpr_dispatch_id 0
		.amdhsa_user_sgpr_flat_scratch_init 0
		.amdhsa_user_sgpr_private_segment_size 0
		.amdhsa_uses_dynamic_stack 0
		.amdhsa_system_sgpr_private_segment_wavefront_offset 0
		.amdhsa_system_sgpr_workgroup_id_x 1
		.amdhsa_system_sgpr_workgroup_id_y 0
		.amdhsa_system_sgpr_workgroup_id_z 0
		.amdhsa_system_sgpr_workgroup_info 0
		.amdhsa_system_vgpr_workitem_id 0
		.amdhsa_next_free_vgpr 7
		.amdhsa_next_free_sgpr 12
		.amdhsa_reserve_vcc 1
		.amdhsa_reserve_flat_scratch 0
		.amdhsa_float_round_mode_32 0
		.amdhsa_float_round_mode_16_64 0
		.amdhsa_float_denorm_mode_32 3
		.amdhsa_float_denorm_mode_16_64 3
		.amdhsa_dx10_clamp 1
		.amdhsa_ieee_mode 1
		.amdhsa_fp16_overflow 0
		.amdhsa_exception_fp_ieee_invalid_op 0
		.amdhsa_exception_fp_denorm_src 0
		.amdhsa_exception_fp_ieee_div_zero 0
		.amdhsa_exception_fp_ieee_overflow 0
		.amdhsa_exception_fp_ieee_underflow 0
		.amdhsa_exception_fp_ieee_inexact 0
		.amdhsa_exception_int_div_zero 0
	.end_amdhsa_kernel
	.section	.text._ZN6thrust23THRUST_200600_302600_NS11hip_rocprim14__parallel_for6kernelILj256ENS1_10for_each_fINS0_7pointerI14custom_numericNS1_3tagENS0_11use_defaultES8_EENS0_6detail16wrapped_functionINSA_23allocator_traits_detail24construct1_via_allocatorINSA_18no_throw_allocatorINSA_19temporary_allocatorIS6_S7_EEEEEEvEEEEmLj1EEEvT0_T1_SM_,"axG",@progbits,_ZN6thrust23THRUST_200600_302600_NS11hip_rocprim14__parallel_for6kernelILj256ENS1_10for_each_fINS0_7pointerI14custom_numericNS1_3tagENS0_11use_defaultES8_EENS0_6detail16wrapped_functionINSA_23allocator_traits_detail24construct1_via_allocatorINSA_18no_throw_allocatorINSA_19temporary_allocatorIS6_S7_EEEEEEvEEEEmLj1EEEvT0_T1_SM_,comdat
.Lfunc_end13:
	.size	_ZN6thrust23THRUST_200600_302600_NS11hip_rocprim14__parallel_for6kernelILj256ENS1_10for_each_fINS0_7pointerI14custom_numericNS1_3tagENS0_11use_defaultES8_EENS0_6detail16wrapped_functionINSA_23allocator_traits_detail24construct1_via_allocatorINSA_18no_throw_allocatorINSA_19temporary_allocatorIS6_S7_EEEEEEvEEEEmLj1EEEvT0_T1_SM_, .Lfunc_end13-_ZN6thrust23THRUST_200600_302600_NS11hip_rocprim14__parallel_for6kernelILj256ENS1_10for_each_fINS0_7pointerI14custom_numericNS1_3tagENS0_11use_defaultES8_EENS0_6detail16wrapped_functionINSA_23allocator_traits_detail24construct1_via_allocatorINSA_18no_throw_allocatorINSA_19temporary_allocatorIS6_S7_EEEEEEvEEEEmLj1EEEvT0_T1_SM_
                                        ; -- End function
	.set _ZN6thrust23THRUST_200600_302600_NS11hip_rocprim14__parallel_for6kernelILj256ENS1_10for_each_fINS0_7pointerI14custom_numericNS1_3tagENS0_11use_defaultES8_EENS0_6detail16wrapped_functionINSA_23allocator_traits_detail24construct1_via_allocatorINSA_18no_throw_allocatorINSA_19temporary_allocatorIS6_S7_EEEEEEvEEEEmLj1EEEvT0_T1_SM_.num_vgpr, 7
	.set _ZN6thrust23THRUST_200600_302600_NS11hip_rocprim14__parallel_for6kernelILj256ENS1_10for_each_fINS0_7pointerI14custom_numericNS1_3tagENS0_11use_defaultES8_EENS0_6detail16wrapped_functionINSA_23allocator_traits_detail24construct1_via_allocatorINSA_18no_throw_allocatorINSA_19temporary_allocatorIS6_S7_EEEEEEvEEEEmLj1EEEvT0_T1_SM_.num_agpr, 0
	.set _ZN6thrust23THRUST_200600_302600_NS11hip_rocprim14__parallel_for6kernelILj256ENS1_10for_each_fINS0_7pointerI14custom_numericNS1_3tagENS0_11use_defaultES8_EENS0_6detail16wrapped_functionINSA_23allocator_traits_detail24construct1_via_allocatorINSA_18no_throw_allocatorINSA_19temporary_allocatorIS6_S7_EEEEEEvEEEEmLj1EEEvT0_T1_SM_.numbered_sgpr, 12
	.set _ZN6thrust23THRUST_200600_302600_NS11hip_rocprim14__parallel_for6kernelILj256ENS1_10for_each_fINS0_7pointerI14custom_numericNS1_3tagENS0_11use_defaultES8_EENS0_6detail16wrapped_functionINSA_23allocator_traits_detail24construct1_via_allocatorINSA_18no_throw_allocatorINSA_19temporary_allocatorIS6_S7_EEEEEEvEEEEmLj1EEEvT0_T1_SM_.num_named_barrier, 0
	.set _ZN6thrust23THRUST_200600_302600_NS11hip_rocprim14__parallel_for6kernelILj256ENS1_10for_each_fINS0_7pointerI14custom_numericNS1_3tagENS0_11use_defaultES8_EENS0_6detail16wrapped_functionINSA_23allocator_traits_detail24construct1_via_allocatorINSA_18no_throw_allocatorINSA_19temporary_allocatorIS6_S7_EEEEEEvEEEEmLj1EEEvT0_T1_SM_.private_seg_size, 0
	.set _ZN6thrust23THRUST_200600_302600_NS11hip_rocprim14__parallel_for6kernelILj256ENS1_10for_each_fINS0_7pointerI14custom_numericNS1_3tagENS0_11use_defaultES8_EENS0_6detail16wrapped_functionINSA_23allocator_traits_detail24construct1_via_allocatorINSA_18no_throw_allocatorINSA_19temporary_allocatorIS6_S7_EEEEEEvEEEEmLj1EEEvT0_T1_SM_.uses_vcc, 1
	.set _ZN6thrust23THRUST_200600_302600_NS11hip_rocprim14__parallel_for6kernelILj256ENS1_10for_each_fINS0_7pointerI14custom_numericNS1_3tagENS0_11use_defaultES8_EENS0_6detail16wrapped_functionINSA_23allocator_traits_detail24construct1_via_allocatorINSA_18no_throw_allocatorINSA_19temporary_allocatorIS6_S7_EEEEEEvEEEEmLj1EEEvT0_T1_SM_.uses_flat_scratch, 0
	.set _ZN6thrust23THRUST_200600_302600_NS11hip_rocprim14__parallel_for6kernelILj256ENS1_10for_each_fINS0_7pointerI14custom_numericNS1_3tagENS0_11use_defaultES8_EENS0_6detail16wrapped_functionINSA_23allocator_traits_detail24construct1_via_allocatorINSA_18no_throw_allocatorINSA_19temporary_allocatorIS6_S7_EEEEEEvEEEEmLj1EEEvT0_T1_SM_.has_dyn_sized_stack, 0
	.set _ZN6thrust23THRUST_200600_302600_NS11hip_rocprim14__parallel_for6kernelILj256ENS1_10for_each_fINS0_7pointerI14custom_numericNS1_3tagENS0_11use_defaultES8_EENS0_6detail16wrapped_functionINSA_23allocator_traits_detail24construct1_via_allocatorINSA_18no_throw_allocatorINSA_19temporary_allocatorIS6_S7_EEEEEEvEEEEmLj1EEEvT0_T1_SM_.has_recursion, 0
	.set _ZN6thrust23THRUST_200600_302600_NS11hip_rocprim14__parallel_for6kernelILj256ENS1_10for_each_fINS0_7pointerI14custom_numericNS1_3tagENS0_11use_defaultES8_EENS0_6detail16wrapped_functionINSA_23allocator_traits_detail24construct1_via_allocatorINSA_18no_throw_allocatorINSA_19temporary_allocatorIS6_S7_EEEEEEvEEEEmLj1EEEvT0_T1_SM_.has_indirect_call, 0
	.section	.AMDGPU.csdata,"",@progbits
; Kernel info:
; codeLenInByte = 228
; TotalNumSgprs: 16
; NumVgprs: 7
; ScratchSize: 0
; MemoryBound: 0
; FloatMode: 240
; IeeeMode: 1
; LDSByteSize: 0 bytes/workgroup (compile time only)
; SGPRBlocks: 1
; VGPRBlocks: 1
; NumSGPRsForWavesPerEU: 16
; NumVGPRsForWavesPerEU: 7
; Occupancy: 10
; WaveLimiterHint : 0
; COMPUTE_PGM_RSRC2:SCRATCH_EN: 0
; COMPUTE_PGM_RSRC2:USER_SGPR: 6
; COMPUTE_PGM_RSRC2:TRAP_HANDLER: 0
; COMPUTE_PGM_RSRC2:TGID_X_EN: 1
; COMPUTE_PGM_RSRC2:TGID_Y_EN: 0
; COMPUTE_PGM_RSRC2:TGID_Z_EN: 0
; COMPUTE_PGM_RSRC2:TIDIG_COMP_CNT: 0
	.section	.text._ZN6thrust23THRUST_200600_302600_NS11hip_rocprim14__parallel_for6kernelILj256ENS1_10for_each_fINS0_7pointerI14custom_numericNS1_3tagENS0_11use_defaultES8_EENS0_6detail16wrapped_functionINSA_23allocator_traits_detail5gozerEvEEEElLj1EEEvT0_T1_SH_,"axG",@progbits,_ZN6thrust23THRUST_200600_302600_NS11hip_rocprim14__parallel_for6kernelILj256ENS1_10for_each_fINS0_7pointerI14custom_numericNS1_3tagENS0_11use_defaultES8_EENS0_6detail16wrapped_functionINSA_23allocator_traits_detail5gozerEvEEEElLj1EEEvT0_T1_SH_,comdat
	.protected	_ZN6thrust23THRUST_200600_302600_NS11hip_rocprim14__parallel_for6kernelILj256ENS1_10for_each_fINS0_7pointerI14custom_numericNS1_3tagENS0_11use_defaultES8_EENS0_6detail16wrapped_functionINSA_23allocator_traits_detail5gozerEvEEEElLj1EEEvT0_T1_SH_ ; -- Begin function _ZN6thrust23THRUST_200600_302600_NS11hip_rocprim14__parallel_for6kernelILj256ENS1_10for_each_fINS0_7pointerI14custom_numericNS1_3tagENS0_11use_defaultES8_EENS0_6detail16wrapped_functionINSA_23allocator_traits_detail5gozerEvEEEElLj1EEEvT0_T1_SH_
	.globl	_ZN6thrust23THRUST_200600_302600_NS11hip_rocprim14__parallel_for6kernelILj256ENS1_10for_each_fINS0_7pointerI14custom_numericNS1_3tagENS0_11use_defaultES8_EENS0_6detail16wrapped_functionINSA_23allocator_traits_detail5gozerEvEEEElLj1EEEvT0_T1_SH_
	.p2align	8
	.type	_ZN6thrust23THRUST_200600_302600_NS11hip_rocprim14__parallel_for6kernelILj256ENS1_10for_each_fINS0_7pointerI14custom_numericNS1_3tagENS0_11use_defaultES8_EENS0_6detail16wrapped_functionINSA_23allocator_traits_detail5gozerEvEEEElLj1EEEvT0_T1_SH_,@function
_ZN6thrust23THRUST_200600_302600_NS11hip_rocprim14__parallel_for6kernelILj256ENS1_10for_each_fINS0_7pointerI14custom_numericNS1_3tagENS0_11use_defaultES8_EENS0_6detail16wrapped_functionINSA_23allocator_traits_detail5gozerEvEEEElLj1EEEvT0_T1_SH_: ; @_ZN6thrust23THRUST_200600_302600_NS11hip_rocprim14__parallel_for6kernelILj256ENS1_10for_each_fINS0_7pointerI14custom_numericNS1_3tagENS0_11use_defaultES8_EENS0_6detail16wrapped_functionINSA_23allocator_traits_detail5gozerEvEEEElLj1EEEvT0_T1_SH_
; %bb.0:
	s_endpgm
	.section	.rodata,"a",@progbits
	.p2align	6, 0x0
	.amdhsa_kernel _ZN6thrust23THRUST_200600_302600_NS11hip_rocprim14__parallel_for6kernelILj256ENS1_10for_each_fINS0_7pointerI14custom_numericNS1_3tagENS0_11use_defaultES8_EENS0_6detail16wrapped_functionINSA_23allocator_traits_detail5gozerEvEEEElLj1EEEvT0_T1_SH_
		.amdhsa_group_segment_fixed_size 0
		.amdhsa_private_segment_fixed_size 0
		.amdhsa_kernarg_size 32
		.amdhsa_user_sgpr_count 6
		.amdhsa_user_sgpr_private_segment_buffer 1
		.amdhsa_user_sgpr_dispatch_ptr 0
		.amdhsa_user_sgpr_queue_ptr 0
		.amdhsa_user_sgpr_kernarg_segment_ptr 1
		.amdhsa_user_sgpr_dispatch_id 0
		.amdhsa_user_sgpr_flat_scratch_init 0
		.amdhsa_user_sgpr_private_segment_size 0
		.amdhsa_uses_dynamic_stack 0
		.amdhsa_system_sgpr_private_segment_wavefront_offset 0
		.amdhsa_system_sgpr_workgroup_id_x 1
		.amdhsa_system_sgpr_workgroup_id_y 0
		.amdhsa_system_sgpr_workgroup_id_z 0
		.amdhsa_system_sgpr_workgroup_info 0
		.amdhsa_system_vgpr_workitem_id 0
		.amdhsa_next_free_vgpr 1
		.amdhsa_next_free_sgpr 0
		.amdhsa_reserve_vcc 0
		.amdhsa_reserve_flat_scratch 0
		.amdhsa_float_round_mode_32 0
		.amdhsa_float_round_mode_16_64 0
		.amdhsa_float_denorm_mode_32 3
		.amdhsa_float_denorm_mode_16_64 3
		.amdhsa_dx10_clamp 1
		.amdhsa_ieee_mode 1
		.amdhsa_fp16_overflow 0
		.amdhsa_exception_fp_ieee_invalid_op 0
		.amdhsa_exception_fp_denorm_src 0
		.amdhsa_exception_fp_ieee_div_zero 0
		.amdhsa_exception_fp_ieee_overflow 0
		.amdhsa_exception_fp_ieee_underflow 0
		.amdhsa_exception_fp_ieee_inexact 0
		.amdhsa_exception_int_div_zero 0
	.end_amdhsa_kernel
	.section	.text._ZN6thrust23THRUST_200600_302600_NS11hip_rocprim14__parallel_for6kernelILj256ENS1_10for_each_fINS0_7pointerI14custom_numericNS1_3tagENS0_11use_defaultES8_EENS0_6detail16wrapped_functionINSA_23allocator_traits_detail5gozerEvEEEElLj1EEEvT0_T1_SH_,"axG",@progbits,_ZN6thrust23THRUST_200600_302600_NS11hip_rocprim14__parallel_for6kernelILj256ENS1_10for_each_fINS0_7pointerI14custom_numericNS1_3tagENS0_11use_defaultES8_EENS0_6detail16wrapped_functionINSA_23allocator_traits_detail5gozerEvEEEElLj1EEEvT0_T1_SH_,comdat
.Lfunc_end14:
	.size	_ZN6thrust23THRUST_200600_302600_NS11hip_rocprim14__parallel_for6kernelILj256ENS1_10for_each_fINS0_7pointerI14custom_numericNS1_3tagENS0_11use_defaultES8_EENS0_6detail16wrapped_functionINSA_23allocator_traits_detail5gozerEvEEEElLj1EEEvT0_T1_SH_, .Lfunc_end14-_ZN6thrust23THRUST_200600_302600_NS11hip_rocprim14__parallel_for6kernelILj256ENS1_10for_each_fINS0_7pointerI14custom_numericNS1_3tagENS0_11use_defaultES8_EENS0_6detail16wrapped_functionINSA_23allocator_traits_detail5gozerEvEEEElLj1EEEvT0_T1_SH_
                                        ; -- End function
	.set _ZN6thrust23THRUST_200600_302600_NS11hip_rocprim14__parallel_for6kernelILj256ENS1_10for_each_fINS0_7pointerI14custom_numericNS1_3tagENS0_11use_defaultES8_EENS0_6detail16wrapped_functionINSA_23allocator_traits_detail5gozerEvEEEElLj1EEEvT0_T1_SH_.num_vgpr, 0
	.set _ZN6thrust23THRUST_200600_302600_NS11hip_rocprim14__parallel_for6kernelILj256ENS1_10for_each_fINS0_7pointerI14custom_numericNS1_3tagENS0_11use_defaultES8_EENS0_6detail16wrapped_functionINSA_23allocator_traits_detail5gozerEvEEEElLj1EEEvT0_T1_SH_.num_agpr, 0
	.set _ZN6thrust23THRUST_200600_302600_NS11hip_rocprim14__parallel_for6kernelILj256ENS1_10for_each_fINS0_7pointerI14custom_numericNS1_3tagENS0_11use_defaultES8_EENS0_6detail16wrapped_functionINSA_23allocator_traits_detail5gozerEvEEEElLj1EEEvT0_T1_SH_.numbered_sgpr, 0
	.set _ZN6thrust23THRUST_200600_302600_NS11hip_rocprim14__parallel_for6kernelILj256ENS1_10for_each_fINS0_7pointerI14custom_numericNS1_3tagENS0_11use_defaultES8_EENS0_6detail16wrapped_functionINSA_23allocator_traits_detail5gozerEvEEEElLj1EEEvT0_T1_SH_.num_named_barrier, 0
	.set _ZN6thrust23THRUST_200600_302600_NS11hip_rocprim14__parallel_for6kernelILj256ENS1_10for_each_fINS0_7pointerI14custom_numericNS1_3tagENS0_11use_defaultES8_EENS0_6detail16wrapped_functionINSA_23allocator_traits_detail5gozerEvEEEElLj1EEEvT0_T1_SH_.private_seg_size, 0
	.set _ZN6thrust23THRUST_200600_302600_NS11hip_rocprim14__parallel_for6kernelILj256ENS1_10for_each_fINS0_7pointerI14custom_numericNS1_3tagENS0_11use_defaultES8_EENS0_6detail16wrapped_functionINSA_23allocator_traits_detail5gozerEvEEEElLj1EEEvT0_T1_SH_.uses_vcc, 0
	.set _ZN6thrust23THRUST_200600_302600_NS11hip_rocprim14__parallel_for6kernelILj256ENS1_10for_each_fINS0_7pointerI14custom_numericNS1_3tagENS0_11use_defaultES8_EENS0_6detail16wrapped_functionINSA_23allocator_traits_detail5gozerEvEEEElLj1EEEvT0_T1_SH_.uses_flat_scratch, 0
	.set _ZN6thrust23THRUST_200600_302600_NS11hip_rocprim14__parallel_for6kernelILj256ENS1_10for_each_fINS0_7pointerI14custom_numericNS1_3tagENS0_11use_defaultES8_EENS0_6detail16wrapped_functionINSA_23allocator_traits_detail5gozerEvEEEElLj1EEEvT0_T1_SH_.has_dyn_sized_stack, 0
	.set _ZN6thrust23THRUST_200600_302600_NS11hip_rocprim14__parallel_for6kernelILj256ENS1_10for_each_fINS0_7pointerI14custom_numericNS1_3tagENS0_11use_defaultES8_EENS0_6detail16wrapped_functionINSA_23allocator_traits_detail5gozerEvEEEElLj1EEEvT0_T1_SH_.has_recursion, 0
	.set _ZN6thrust23THRUST_200600_302600_NS11hip_rocprim14__parallel_for6kernelILj256ENS1_10for_each_fINS0_7pointerI14custom_numericNS1_3tagENS0_11use_defaultES8_EENS0_6detail16wrapped_functionINSA_23allocator_traits_detail5gozerEvEEEElLj1EEEvT0_T1_SH_.has_indirect_call, 0
	.section	.AMDGPU.csdata,"",@progbits
; Kernel info:
; codeLenInByte = 4
; TotalNumSgprs: 4
; NumVgprs: 0
; ScratchSize: 0
; MemoryBound: 0
; FloatMode: 240
; IeeeMode: 1
; LDSByteSize: 0 bytes/workgroup (compile time only)
; SGPRBlocks: 0
; VGPRBlocks: 0
; NumSGPRsForWavesPerEU: 4
; NumVGPRsForWavesPerEU: 1
; Occupancy: 10
; WaveLimiterHint : 0
; COMPUTE_PGM_RSRC2:SCRATCH_EN: 0
; COMPUTE_PGM_RSRC2:USER_SGPR: 6
; COMPUTE_PGM_RSRC2:TRAP_HANDLER: 0
; COMPUTE_PGM_RSRC2:TGID_X_EN: 1
; COMPUTE_PGM_RSRC2:TGID_Y_EN: 0
; COMPUTE_PGM_RSRC2:TGID_Z_EN: 0
; COMPUTE_PGM_RSRC2:TIDIG_COMP_CNT: 0
	.section	.text._ZN6thrust23THRUST_200600_302600_NS11hip_rocprim14__parallel_for6kernelILj256ENS1_11__transform17unary_transform_fINS0_7pointerI14custom_numericNS1_3tagENS0_11use_defaultES9_EENS0_10device_ptrIS7_EENS4_14no_stencil_tagENS0_8identityIS7_EENS4_21always_true_predicateEEElLj1EEEvT0_T1_SJ_,"axG",@progbits,_ZN6thrust23THRUST_200600_302600_NS11hip_rocprim14__parallel_for6kernelILj256ENS1_11__transform17unary_transform_fINS0_7pointerI14custom_numericNS1_3tagENS0_11use_defaultES9_EENS0_10device_ptrIS7_EENS4_14no_stencil_tagENS0_8identityIS7_EENS4_21always_true_predicateEEElLj1EEEvT0_T1_SJ_,comdat
	.protected	_ZN6thrust23THRUST_200600_302600_NS11hip_rocprim14__parallel_for6kernelILj256ENS1_11__transform17unary_transform_fINS0_7pointerI14custom_numericNS1_3tagENS0_11use_defaultES9_EENS0_10device_ptrIS7_EENS4_14no_stencil_tagENS0_8identityIS7_EENS4_21always_true_predicateEEElLj1EEEvT0_T1_SJ_ ; -- Begin function _ZN6thrust23THRUST_200600_302600_NS11hip_rocprim14__parallel_for6kernelILj256ENS1_11__transform17unary_transform_fINS0_7pointerI14custom_numericNS1_3tagENS0_11use_defaultES9_EENS0_10device_ptrIS7_EENS4_14no_stencil_tagENS0_8identityIS7_EENS4_21always_true_predicateEEElLj1EEEvT0_T1_SJ_
	.globl	_ZN6thrust23THRUST_200600_302600_NS11hip_rocprim14__parallel_for6kernelILj256ENS1_11__transform17unary_transform_fINS0_7pointerI14custom_numericNS1_3tagENS0_11use_defaultES9_EENS0_10device_ptrIS7_EENS4_14no_stencil_tagENS0_8identityIS7_EENS4_21always_true_predicateEEElLj1EEEvT0_T1_SJ_
	.p2align	8
	.type	_ZN6thrust23THRUST_200600_302600_NS11hip_rocprim14__parallel_for6kernelILj256ENS1_11__transform17unary_transform_fINS0_7pointerI14custom_numericNS1_3tagENS0_11use_defaultES9_EENS0_10device_ptrIS7_EENS4_14no_stencil_tagENS0_8identityIS7_EENS4_21always_true_predicateEEElLj1EEEvT0_T1_SJ_,@function
_ZN6thrust23THRUST_200600_302600_NS11hip_rocprim14__parallel_for6kernelILj256ENS1_11__transform17unary_transform_fINS0_7pointerI14custom_numericNS1_3tagENS0_11use_defaultES9_EENS0_10device_ptrIS7_EENS4_14no_stencil_tagENS0_8identityIS7_EENS4_21always_true_predicateEEElLj1EEEvT0_T1_SJ_: ; @_ZN6thrust23THRUST_200600_302600_NS11hip_rocprim14__parallel_for6kernelILj256ENS1_11__transform17unary_transform_fINS0_7pointerI14custom_numericNS1_3tagENS0_11use_defaultES9_EENS0_10device_ptrIS7_EENS4_14no_stencil_tagENS0_8identityIS7_EENS4_21always_true_predicateEEElLj1EEEvT0_T1_SJ_
; %bb.0:
	s_load_dwordx4 s[0:3], s[4:5], 0x18
	s_lshl_b32 s6, s6, 8
	v_mov_b32_e32 v1, 0x100
	v_mov_b32_e32 v2, 0
	s_waitcnt lgkmcnt(0)
	s_add_u32 s6, s2, s6
	s_addc_u32 s7, s3, 0
	s_sub_u32 s8, s0, s6
	s_subb_u32 s9, s1, s7
	v_cmp_lt_i64_e32 vcc, s[8:9], v[1:2]
	s_load_dwordx4 s[0:3], s[4:5], 0x0
	s_and_b64 s[4:5], vcc, exec
	s_cselect_b32 s8, s8, 0x100
	s_cmpk_eq_i32 s8, 0x100
	s_mov_b64 s[4:5], -1
	s_cbranch_scc0 .LBB15_3
; %bb.1:
	s_andn2_b64 vcc, exec, s[4:5]
	s_cbranch_vccz .LBB15_6
.LBB15_2:
	s_endpgm
.LBB15_3:
	v_cmp_gt_u32_e32 vcc, s8, v0
	s_and_saveexec_b64 s[4:5], vcc
	s_cbranch_execz .LBB15_5
; %bb.4:
	v_mov_b32_e32 v1, s7
	v_add_co_u32_e32 v3, vcc, s6, v0
	v_addc_co_u32_e32 v1, vcc, 0, v1, vcc
	v_mul_lo_u32 v4, v1, 20
	s_waitcnt lgkmcnt(0)
	v_mad_u64_u32 v[1:2], s[8:9], v3, 20, s[0:1]
	v_mad_u64_u32 v[5:6], s[8:9], v3, 20, s[2:3]
	v_add_u32_e32 v2, v4, v2
	flat_load_dword v1, v[1:2]
	v_add_u32_e32 v6, v4, v6
	s_waitcnt vmcnt(0) lgkmcnt(0)
	v_mov_b32_e32 v2, v1
	v_mov_b32_e32 v3, v1
	;; [unrolled: 1-line block ×3, first 2 shown]
	flat_store_dwordx4 v[5:6], v[1:4]
	flat_store_dword v[5:6], v1 offset:16
.LBB15_5:
	s_or_b64 exec, exec, s[4:5]
	s_cbranch_execnz .LBB15_2
.LBB15_6:
	v_mov_b32_e32 v1, s7
	v_add_co_u32_e32 v2, vcc, s6, v0
	v_addc_co_u32_e32 v3, vcc, 0, v1, vcc
	s_waitcnt lgkmcnt(0)
	v_mad_u64_u32 v[0:1], s[0:1], v2, 20, s[0:1]
	v_mul_lo_u32 v3, v3, 20
	v_mad_u64_u32 v[4:5], s[0:1], v2, 20, s[2:3]
	v_add_u32_e32 v1, v3, v1
	flat_load_dword v0, v[0:1]
	v_add_u32_e32 v5, v3, v5
	s_waitcnt vmcnt(0) lgkmcnt(0)
	v_mov_b32_e32 v1, v0
	v_mov_b32_e32 v2, v0
	;; [unrolled: 1-line block ×3, first 2 shown]
	flat_store_dwordx4 v[4:5], v[0:3]
	flat_store_dword v[4:5], v0 offset:16
	s_endpgm
	.section	.rodata,"a",@progbits
	.p2align	6, 0x0
	.amdhsa_kernel _ZN6thrust23THRUST_200600_302600_NS11hip_rocprim14__parallel_for6kernelILj256ENS1_11__transform17unary_transform_fINS0_7pointerI14custom_numericNS1_3tagENS0_11use_defaultES9_EENS0_10device_ptrIS7_EENS4_14no_stencil_tagENS0_8identityIS7_EENS4_21always_true_predicateEEElLj1EEEvT0_T1_SJ_
		.amdhsa_group_segment_fixed_size 0
		.amdhsa_private_segment_fixed_size 0
		.amdhsa_kernarg_size 40
		.amdhsa_user_sgpr_count 6
		.amdhsa_user_sgpr_private_segment_buffer 1
		.amdhsa_user_sgpr_dispatch_ptr 0
		.amdhsa_user_sgpr_queue_ptr 0
		.amdhsa_user_sgpr_kernarg_segment_ptr 1
		.amdhsa_user_sgpr_dispatch_id 0
		.amdhsa_user_sgpr_flat_scratch_init 0
		.amdhsa_user_sgpr_private_segment_size 0
		.amdhsa_uses_dynamic_stack 0
		.amdhsa_system_sgpr_private_segment_wavefront_offset 0
		.amdhsa_system_sgpr_workgroup_id_x 1
		.amdhsa_system_sgpr_workgroup_id_y 0
		.amdhsa_system_sgpr_workgroup_id_z 0
		.amdhsa_system_sgpr_workgroup_info 0
		.amdhsa_system_vgpr_workitem_id 0
		.amdhsa_next_free_vgpr 7
		.amdhsa_next_free_sgpr 10
		.amdhsa_reserve_vcc 1
		.amdhsa_reserve_flat_scratch 0
		.amdhsa_float_round_mode_32 0
		.amdhsa_float_round_mode_16_64 0
		.amdhsa_float_denorm_mode_32 3
		.amdhsa_float_denorm_mode_16_64 3
		.amdhsa_dx10_clamp 1
		.amdhsa_ieee_mode 1
		.amdhsa_fp16_overflow 0
		.amdhsa_exception_fp_ieee_invalid_op 0
		.amdhsa_exception_fp_denorm_src 0
		.amdhsa_exception_fp_ieee_div_zero 0
		.amdhsa_exception_fp_ieee_overflow 0
		.amdhsa_exception_fp_ieee_underflow 0
		.amdhsa_exception_fp_ieee_inexact 0
		.amdhsa_exception_int_div_zero 0
	.end_amdhsa_kernel
	.section	.text._ZN6thrust23THRUST_200600_302600_NS11hip_rocprim14__parallel_for6kernelILj256ENS1_11__transform17unary_transform_fINS0_7pointerI14custom_numericNS1_3tagENS0_11use_defaultES9_EENS0_10device_ptrIS7_EENS4_14no_stencil_tagENS0_8identityIS7_EENS4_21always_true_predicateEEElLj1EEEvT0_T1_SJ_,"axG",@progbits,_ZN6thrust23THRUST_200600_302600_NS11hip_rocprim14__parallel_for6kernelILj256ENS1_11__transform17unary_transform_fINS0_7pointerI14custom_numericNS1_3tagENS0_11use_defaultES9_EENS0_10device_ptrIS7_EENS4_14no_stencil_tagENS0_8identityIS7_EENS4_21always_true_predicateEEElLj1EEEvT0_T1_SJ_,comdat
.Lfunc_end15:
	.size	_ZN6thrust23THRUST_200600_302600_NS11hip_rocprim14__parallel_for6kernelILj256ENS1_11__transform17unary_transform_fINS0_7pointerI14custom_numericNS1_3tagENS0_11use_defaultES9_EENS0_10device_ptrIS7_EENS4_14no_stencil_tagENS0_8identityIS7_EENS4_21always_true_predicateEEElLj1EEEvT0_T1_SJ_, .Lfunc_end15-_ZN6thrust23THRUST_200600_302600_NS11hip_rocprim14__parallel_for6kernelILj256ENS1_11__transform17unary_transform_fINS0_7pointerI14custom_numericNS1_3tagENS0_11use_defaultES9_EENS0_10device_ptrIS7_EENS4_14no_stencil_tagENS0_8identityIS7_EENS4_21always_true_predicateEEElLj1EEEvT0_T1_SJ_
                                        ; -- End function
	.set _ZN6thrust23THRUST_200600_302600_NS11hip_rocprim14__parallel_for6kernelILj256ENS1_11__transform17unary_transform_fINS0_7pointerI14custom_numericNS1_3tagENS0_11use_defaultES9_EENS0_10device_ptrIS7_EENS4_14no_stencil_tagENS0_8identityIS7_EENS4_21always_true_predicateEEElLj1EEEvT0_T1_SJ_.num_vgpr, 7
	.set _ZN6thrust23THRUST_200600_302600_NS11hip_rocprim14__parallel_for6kernelILj256ENS1_11__transform17unary_transform_fINS0_7pointerI14custom_numericNS1_3tagENS0_11use_defaultES9_EENS0_10device_ptrIS7_EENS4_14no_stencil_tagENS0_8identityIS7_EENS4_21always_true_predicateEEElLj1EEEvT0_T1_SJ_.num_agpr, 0
	.set _ZN6thrust23THRUST_200600_302600_NS11hip_rocprim14__parallel_for6kernelILj256ENS1_11__transform17unary_transform_fINS0_7pointerI14custom_numericNS1_3tagENS0_11use_defaultES9_EENS0_10device_ptrIS7_EENS4_14no_stencil_tagENS0_8identityIS7_EENS4_21always_true_predicateEEElLj1EEEvT0_T1_SJ_.numbered_sgpr, 10
	.set _ZN6thrust23THRUST_200600_302600_NS11hip_rocprim14__parallel_for6kernelILj256ENS1_11__transform17unary_transform_fINS0_7pointerI14custom_numericNS1_3tagENS0_11use_defaultES9_EENS0_10device_ptrIS7_EENS4_14no_stencil_tagENS0_8identityIS7_EENS4_21always_true_predicateEEElLj1EEEvT0_T1_SJ_.num_named_barrier, 0
	.set _ZN6thrust23THRUST_200600_302600_NS11hip_rocprim14__parallel_for6kernelILj256ENS1_11__transform17unary_transform_fINS0_7pointerI14custom_numericNS1_3tagENS0_11use_defaultES9_EENS0_10device_ptrIS7_EENS4_14no_stencil_tagENS0_8identityIS7_EENS4_21always_true_predicateEEElLj1EEEvT0_T1_SJ_.private_seg_size, 0
	.set _ZN6thrust23THRUST_200600_302600_NS11hip_rocprim14__parallel_for6kernelILj256ENS1_11__transform17unary_transform_fINS0_7pointerI14custom_numericNS1_3tagENS0_11use_defaultES9_EENS0_10device_ptrIS7_EENS4_14no_stencil_tagENS0_8identityIS7_EENS4_21always_true_predicateEEElLj1EEEvT0_T1_SJ_.uses_vcc, 1
	.set _ZN6thrust23THRUST_200600_302600_NS11hip_rocprim14__parallel_for6kernelILj256ENS1_11__transform17unary_transform_fINS0_7pointerI14custom_numericNS1_3tagENS0_11use_defaultES9_EENS0_10device_ptrIS7_EENS4_14no_stencil_tagENS0_8identityIS7_EENS4_21always_true_predicateEEElLj1EEEvT0_T1_SJ_.uses_flat_scratch, 0
	.set _ZN6thrust23THRUST_200600_302600_NS11hip_rocprim14__parallel_for6kernelILj256ENS1_11__transform17unary_transform_fINS0_7pointerI14custom_numericNS1_3tagENS0_11use_defaultES9_EENS0_10device_ptrIS7_EENS4_14no_stencil_tagENS0_8identityIS7_EENS4_21always_true_predicateEEElLj1EEEvT0_T1_SJ_.has_dyn_sized_stack, 0
	.set _ZN6thrust23THRUST_200600_302600_NS11hip_rocprim14__parallel_for6kernelILj256ENS1_11__transform17unary_transform_fINS0_7pointerI14custom_numericNS1_3tagENS0_11use_defaultES9_EENS0_10device_ptrIS7_EENS4_14no_stencil_tagENS0_8identityIS7_EENS4_21always_true_predicateEEElLj1EEEvT0_T1_SJ_.has_recursion, 0
	.set _ZN6thrust23THRUST_200600_302600_NS11hip_rocprim14__parallel_for6kernelILj256ENS1_11__transform17unary_transform_fINS0_7pointerI14custom_numericNS1_3tagENS0_11use_defaultES9_EENS0_10device_ptrIS7_EENS4_14no_stencil_tagENS0_8identityIS7_EENS4_21always_true_predicateEEElLj1EEEvT0_T1_SJ_.has_indirect_call, 0
	.section	.AMDGPU.csdata,"",@progbits
; Kernel info:
; codeLenInByte = 292
; TotalNumSgprs: 14
; NumVgprs: 7
; ScratchSize: 0
; MemoryBound: 0
; FloatMode: 240
; IeeeMode: 1
; LDSByteSize: 0 bytes/workgroup (compile time only)
; SGPRBlocks: 1
; VGPRBlocks: 1
; NumSGPRsForWavesPerEU: 14
; NumVGPRsForWavesPerEU: 7
; Occupancy: 10
; WaveLimiterHint : 0
; COMPUTE_PGM_RSRC2:SCRATCH_EN: 0
; COMPUTE_PGM_RSRC2:USER_SGPR: 6
; COMPUTE_PGM_RSRC2:TRAP_HANDLER: 0
; COMPUTE_PGM_RSRC2:TGID_X_EN: 1
; COMPUTE_PGM_RSRC2:TGID_Y_EN: 0
; COMPUTE_PGM_RSRC2:TGID_Z_EN: 0
; COMPUTE_PGM_RSRC2:TIDIG_COMP_CNT: 0
	.section	.text._ZN6thrust23THRUST_200600_302600_NS11hip_rocprim14__parallel_for6kernelILj256ENS1_20__uninitialized_copy7functorINS0_7pointerI14custom_numericNS1_3tagENS0_11use_defaultES9_EESA_EEmLj1EEEvT0_T1_SD_,"axG",@progbits,_ZN6thrust23THRUST_200600_302600_NS11hip_rocprim14__parallel_for6kernelILj256ENS1_20__uninitialized_copy7functorINS0_7pointerI14custom_numericNS1_3tagENS0_11use_defaultES9_EESA_EEmLj1EEEvT0_T1_SD_,comdat
	.protected	_ZN6thrust23THRUST_200600_302600_NS11hip_rocprim14__parallel_for6kernelILj256ENS1_20__uninitialized_copy7functorINS0_7pointerI14custom_numericNS1_3tagENS0_11use_defaultES9_EESA_EEmLj1EEEvT0_T1_SD_ ; -- Begin function _ZN6thrust23THRUST_200600_302600_NS11hip_rocprim14__parallel_for6kernelILj256ENS1_20__uninitialized_copy7functorINS0_7pointerI14custom_numericNS1_3tagENS0_11use_defaultES9_EESA_EEmLj1EEEvT0_T1_SD_
	.globl	_ZN6thrust23THRUST_200600_302600_NS11hip_rocprim14__parallel_for6kernelILj256ENS1_20__uninitialized_copy7functorINS0_7pointerI14custom_numericNS1_3tagENS0_11use_defaultES9_EESA_EEmLj1EEEvT0_T1_SD_
	.p2align	8
	.type	_ZN6thrust23THRUST_200600_302600_NS11hip_rocprim14__parallel_for6kernelILj256ENS1_20__uninitialized_copy7functorINS0_7pointerI14custom_numericNS1_3tagENS0_11use_defaultES9_EESA_EEmLj1EEEvT0_T1_SD_,@function
_ZN6thrust23THRUST_200600_302600_NS11hip_rocprim14__parallel_for6kernelILj256ENS1_20__uninitialized_copy7functorINS0_7pointerI14custom_numericNS1_3tagENS0_11use_defaultES9_EESA_EEmLj1EEEvT0_T1_SD_: ; @_ZN6thrust23THRUST_200600_302600_NS11hip_rocprim14__parallel_for6kernelILj256ENS1_20__uninitialized_copy7functorINS0_7pointerI14custom_numericNS1_3tagENS0_11use_defaultES9_EESA_EEmLj1EEEvT0_T1_SD_
; %bb.0:
	s_load_dwordx8 s[8:15], s[4:5], 0x0
	s_lshl_b32 s0, s6, 8
	v_mov_b32_e32 v1, 0xff
	v_mov_b32_e32 v2, 0
	s_mov_b64 s[2:3], -1
	s_waitcnt lgkmcnt(0)
	s_add_u32 s4, s14, s0
	s_addc_u32 s5, s15, 0
	s_sub_u32 s0, s12, s4
	s_subb_u32 s1, s13, s5
	v_cmp_gt_u64_e32 vcc, s[0:1], v[1:2]
	s_cbranch_vccz .LBB16_3
; %bb.1:
	s_andn2_b64 vcc, exec, s[2:3]
	s_cbranch_vccz .LBB16_6
.LBB16_2:
	s_endpgm
.LBB16_3:
	v_cmp_gt_u32_e32 vcc, s0, v0
	s_and_saveexec_b64 s[0:1], vcc
	s_cbranch_execz .LBB16_5
; %bb.4:
	v_mov_b32_e32 v1, s5
	v_add_co_u32_e32 v3, vcc, s4, v0
	v_addc_co_u32_e32 v1, vcc, 0, v1, vcc
	v_mul_lo_u32 v4, v1, 20
	v_mad_u64_u32 v[1:2], s[2:3], v3, 20, s[8:9]
	v_mad_u64_u32 v[5:6], s[2:3], v3, 20, s[10:11]
	v_add_u32_e32 v2, v4, v2
	flat_load_dword v1, v[1:2]
	v_add_u32_e32 v6, v4, v6
	s_waitcnt vmcnt(0) lgkmcnt(0)
	v_mov_b32_e32 v2, v1
	v_mov_b32_e32 v3, v1
	;; [unrolled: 1-line block ×3, first 2 shown]
	flat_store_dwordx4 v[5:6], v[1:4]
	flat_store_dword v[5:6], v1 offset:16
.LBB16_5:
	s_or_b64 exec, exec, s[0:1]
	s_cbranch_execnz .LBB16_2
.LBB16_6:
	v_mov_b32_e32 v1, s5
	v_add_co_u32_e32 v2, vcc, s4, v0
	v_addc_co_u32_e32 v3, vcc, 0, v1, vcc
	v_mad_u64_u32 v[0:1], s[0:1], v2, 20, s[8:9]
	v_mul_lo_u32 v3, v3, 20
	v_mad_u64_u32 v[4:5], s[0:1], v2, 20, s[10:11]
	v_add_u32_e32 v1, v3, v1
	flat_load_dword v0, v[0:1]
	v_add_u32_e32 v5, v3, v5
	s_waitcnt vmcnt(0) lgkmcnt(0)
	v_mov_b32_e32 v1, v0
	v_mov_b32_e32 v2, v0
	v_mov_b32_e32 v3, v0
	flat_store_dwordx4 v[4:5], v[0:3]
	flat_store_dword v[4:5], v0 offset:16
	s_endpgm
	.section	.rodata,"a",@progbits
	.p2align	6, 0x0
	.amdhsa_kernel _ZN6thrust23THRUST_200600_302600_NS11hip_rocprim14__parallel_for6kernelILj256ENS1_20__uninitialized_copy7functorINS0_7pointerI14custom_numericNS1_3tagENS0_11use_defaultES9_EESA_EEmLj1EEEvT0_T1_SD_
		.amdhsa_group_segment_fixed_size 0
		.amdhsa_private_segment_fixed_size 0
		.amdhsa_kernarg_size 32
		.amdhsa_user_sgpr_count 6
		.amdhsa_user_sgpr_private_segment_buffer 1
		.amdhsa_user_sgpr_dispatch_ptr 0
		.amdhsa_user_sgpr_queue_ptr 0
		.amdhsa_user_sgpr_kernarg_segment_ptr 1
		.amdhsa_user_sgpr_dispatch_id 0
		.amdhsa_user_sgpr_flat_scratch_init 0
		.amdhsa_user_sgpr_private_segment_size 0
		.amdhsa_uses_dynamic_stack 0
		.amdhsa_system_sgpr_private_segment_wavefront_offset 0
		.amdhsa_system_sgpr_workgroup_id_x 1
		.amdhsa_system_sgpr_workgroup_id_y 0
		.amdhsa_system_sgpr_workgroup_id_z 0
		.amdhsa_system_sgpr_workgroup_info 0
		.amdhsa_system_vgpr_workitem_id 0
		.amdhsa_next_free_vgpr 7
		.amdhsa_next_free_sgpr 16
		.amdhsa_reserve_vcc 1
		.amdhsa_reserve_flat_scratch 0
		.amdhsa_float_round_mode_32 0
		.amdhsa_float_round_mode_16_64 0
		.amdhsa_float_denorm_mode_32 3
		.amdhsa_float_denorm_mode_16_64 3
		.amdhsa_dx10_clamp 1
		.amdhsa_ieee_mode 1
		.amdhsa_fp16_overflow 0
		.amdhsa_exception_fp_ieee_invalid_op 0
		.amdhsa_exception_fp_denorm_src 0
		.amdhsa_exception_fp_ieee_div_zero 0
		.amdhsa_exception_fp_ieee_overflow 0
		.amdhsa_exception_fp_ieee_underflow 0
		.amdhsa_exception_fp_ieee_inexact 0
		.amdhsa_exception_int_div_zero 0
	.end_amdhsa_kernel
	.section	.text._ZN6thrust23THRUST_200600_302600_NS11hip_rocprim14__parallel_for6kernelILj256ENS1_20__uninitialized_copy7functorINS0_7pointerI14custom_numericNS1_3tagENS0_11use_defaultES9_EESA_EEmLj1EEEvT0_T1_SD_,"axG",@progbits,_ZN6thrust23THRUST_200600_302600_NS11hip_rocprim14__parallel_for6kernelILj256ENS1_20__uninitialized_copy7functorINS0_7pointerI14custom_numericNS1_3tagENS0_11use_defaultES9_EESA_EEmLj1EEEvT0_T1_SD_,comdat
.Lfunc_end16:
	.size	_ZN6thrust23THRUST_200600_302600_NS11hip_rocprim14__parallel_for6kernelILj256ENS1_20__uninitialized_copy7functorINS0_7pointerI14custom_numericNS1_3tagENS0_11use_defaultES9_EESA_EEmLj1EEEvT0_T1_SD_, .Lfunc_end16-_ZN6thrust23THRUST_200600_302600_NS11hip_rocprim14__parallel_for6kernelILj256ENS1_20__uninitialized_copy7functorINS0_7pointerI14custom_numericNS1_3tagENS0_11use_defaultES9_EESA_EEmLj1EEEvT0_T1_SD_
                                        ; -- End function
	.set _ZN6thrust23THRUST_200600_302600_NS11hip_rocprim14__parallel_for6kernelILj256ENS1_20__uninitialized_copy7functorINS0_7pointerI14custom_numericNS1_3tagENS0_11use_defaultES9_EESA_EEmLj1EEEvT0_T1_SD_.num_vgpr, 7
	.set _ZN6thrust23THRUST_200600_302600_NS11hip_rocprim14__parallel_for6kernelILj256ENS1_20__uninitialized_copy7functorINS0_7pointerI14custom_numericNS1_3tagENS0_11use_defaultES9_EESA_EEmLj1EEEvT0_T1_SD_.num_agpr, 0
	.set _ZN6thrust23THRUST_200600_302600_NS11hip_rocprim14__parallel_for6kernelILj256ENS1_20__uninitialized_copy7functorINS0_7pointerI14custom_numericNS1_3tagENS0_11use_defaultES9_EESA_EEmLj1EEEvT0_T1_SD_.numbered_sgpr, 16
	.set _ZN6thrust23THRUST_200600_302600_NS11hip_rocprim14__parallel_for6kernelILj256ENS1_20__uninitialized_copy7functorINS0_7pointerI14custom_numericNS1_3tagENS0_11use_defaultES9_EESA_EEmLj1EEEvT0_T1_SD_.num_named_barrier, 0
	.set _ZN6thrust23THRUST_200600_302600_NS11hip_rocprim14__parallel_for6kernelILj256ENS1_20__uninitialized_copy7functorINS0_7pointerI14custom_numericNS1_3tagENS0_11use_defaultES9_EESA_EEmLj1EEEvT0_T1_SD_.private_seg_size, 0
	.set _ZN6thrust23THRUST_200600_302600_NS11hip_rocprim14__parallel_for6kernelILj256ENS1_20__uninitialized_copy7functorINS0_7pointerI14custom_numericNS1_3tagENS0_11use_defaultES9_EESA_EEmLj1EEEvT0_T1_SD_.uses_vcc, 1
	.set _ZN6thrust23THRUST_200600_302600_NS11hip_rocprim14__parallel_for6kernelILj256ENS1_20__uninitialized_copy7functorINS0_7pointerI14custom_numericNS1_3tagENS0_11use_defaultES9_EESA_EEmLj1EEEvT0_T1_SD_.uses_flat_scratch, 0
	.set _ZN6thrust23THRUST_200600_302600_NS11hip_rocprim14__parallel_for6kernelILj256ENS1_20__uninitialized_copy7functorINS0_7pointerI14custom_numericNS1_3tagENS0_11use_defaultES9_EESA_EEmLj1EEEvT0_T1_SD_.has_dyn_sized_stack, 0
	.set _ZN6thrust23THRUST_200600_302600_NS11hip_rocprim14__parallel_for6kernelILj256ENS1_20__uninitialized_copy7functorINS0_7pointerI14custom_numericNS1_3tagENS0_11use_defaultES9_EESA_EEmLj1EEEvT0_T1_SD_.has_recursion, 0
	.set _ZN6thrust23THRUST_200600_302600_NS11hip_rocprim14__parallel_for6kernelILj256ENS1_20__uninitialized_copy7functorINS0_7pointerI14custom_numericNS1_3tagENS0_11use_defaultES9_EESA_EEmLj1EEEvT0_T1_SD_.has_indirect_call, 0
	.section	.AMDGPU.csdata,"",@progbits
; Kernel info:
; codeLenInByte = 260
; TotalNumSgprs: 20
; NumVgprs: 7
; ScratchSize: 0
; MemoryBound: 0
; FloatMode: 240
; IeeeMode: 1
; LDSByteSize: 0 bytes/workgroup (compile time only)
; SGPRBlocks: 2
; VGPRBlocks: 1
; NumSGPRsForWavesPerEU: 20
; NumVGPRsForWavesPerEU: 7
; Occupancy: 10
; WaveLimiterHint : 0
; COMPUTE_PGM_RSRC2:SCRATCH_EN: 0
; COMPUTE_PGM_RSRC2:USER_SGPR: 6
; COMPUTE_PGM_RSRC2:TRAP_HANDLER: 0
; COMPUTE_PGM_RSRC2:TGID_X_EN: 1
; COMPUTE_PGM_RSRC2:TGID_Y_EN: 0
; COMPUTE_PGM_RSRC2:TGID_Z_EN: 0
; COMPUTE_PGM_RSRC2:TIDIG_COMP_CNT: 0
	.section	.text._ZN6thrust23THRUST_200600_302600_NS11hip_rocprim14__parallel_for6kernelILj256ENS1_10for_each_fINS0_10device_ptrI14custom_numericEENS0_6detail16wrapped_functionINS8_23allocator_traits_detail5gozerEvEEEElLj1EEEvT0_T1_SF_,"axG",@progbits,_ZN6thrust23THRUST_200600_302600_NS11hip_rocprim14__parallel_for6kernelILj256ENS1_10for_each_fINS0_10device_ptrI14custom_numericEENS0_6detail16wrapped_functionINS8_23allocator_traits_detail5gozerEvEEEElLj1EEEvT0_T1_SF_,comdat
	.protected	_ZN6thrust23THRUST_200600_302600_NS11hip_rocprim14__parallel_for6kernelILj256ENS1_10for_each_fINS0_10device_ptrI14custom_numericEENS0_6detail16wrapped_functionINS8_23allocator_traits_detail5gozerEvEEEElLj1EEEvT0_T1_SF_ ; -- Begin function _ZN6thrust23THRUST_200600_302600_NS11hip_rocprim14__parallel_for6kernelILj256ENS1_10for_each_fINS0_10device_ptrI14custom_numericEENS0_6detail16wrapped_functionINS8_23allocator_traits_detail5gozerEvEEEElLj1EEEvT0_T1_SF_
	.globl	_ZN6thrust23THRUST_200600_302600_NS11hip_rocprim14__parallel_for6kernelILj256ENS1_10for_each_fINS0_10device_ptrI14custom_numericEENS0_6detail16wrapped_functionINS8_23allocator_traits_detail5gozerEvEEEElLj1EEEvT0_T1_SF_
	.p2align	8
	.type	_ZN6thrust23THRUST_200600_302600_NS11hip_rocprim14__parallel_for6kernelILj256ENS1_10for_each_fINS0_10device_ptrI14custom_numericEENS0_6detail16wrapped_functionINS8_23allocator_traits_detail5gozerEvEEEElLj1EEEvT0_T1_SF_,@function
_ZN6thrust23THRUST_200600_302600_NS11hip_rocprim14__parallel_for6kernelILj256ENS1_10for_each_fINS0_10device_ptrI14custom_numericEENS0_6detail16wrapped_functionINS8_23allocator_traits_detail5gozerEvEEEElLj1EEEvT0_T1_SF_: ; @_ZN6thrust23THRUST_200600_302600_NS11hip_rocprim14__parallel_for6kernelILj256ENS1_10for_each_fINS0_10device_ptrI14custom_numericEENS0_6detail16wrapped_functionINS8_23allocator_traits_detail5gozerEvEEEElLj1EEEvT0_T1_SF_
; %bb.0:
	s_endpgm
	.section	.rodata,"a",@progbits
	.p2align	6, 0x0
	.amdhsa_kernel _ZN6thrust23THRUST_200600_302600_NS11hip_rocprim14__parallel_for6kernelILj256ENS1_10for_each_fINS0_10device_ptrI14custom_numericEENS0_6detail16wrapped_functionINS8_23allocator_traits_detail5gozerEvEEEElLj1EEEvT0_T1_SF_
		.amdhsa_group_segment_fixed_size 0
		.amdhsa_private_segment_fixed_size 0
		.amdhsa_kernarg_size 32
		.amdhsa_user_sgpr_count 6
		.amdhsa_user_sgpr_private_segment_buffer 1
		.amdhsa_user_sgpr_dispatch_ptr 0
		.amdhsa_user_sgpr_queue_ptr 0
		.amdhsa_user_sgpr_kernarg_segment_ptr 1
		.amdhsa_user_sgpr_dispatch_id 0
		.amdhsa_user_sgpr_flat_scratch_init 0
		.amdhsa_user_sgpr_private_segment_size 0
		.amdhsa_uses_dynamic_stack 0
		.amdhsa_system_sgpr_private_segment_wavefront_offset 0
		.amdhsa_system_sgpr_workgroup_id_x 1
		.amdhsa_system_sgpr_workgroup_id_y 0
		.amdhsa_system_sgpr_workgroup_id_z 0
		.amdhsa_system_sgpr_workgroup_info 0
		.amdhsa_system_vgpr_workitem_id 0
		.amdhsa_next_free_vgpr 1
		.amdhsa_next_free_sgpr 0
		.amdhsa_reserve_vcc 0
		.amdhsa_reserve_flat_scratch 0
		.amdhsa_float_round_mode_32 0
		.amdhsa_float_round_mode_16_64 0
		.amdhsa_float_denorm_mode_32 3
		.amdhsa_float_denorm_mode_16_64 3
		.amdhsa_dx10_clamp 1
		.amdhsa_ieee_mode 1
		.amdhsa_fp16_overflow 0
		.amdhsa_exception_fp_ieee_invalid_op 0
		.amdhsa_exception_fp_denorm_src 0
		.amdhsa_exception_fp_ieee_div_zero 0
		.amdhsa_exception_fp_ieee_overflow 0
		.amdhsa_exception_fp_ieee_underflow 0
		.amdhsa_exception_fp_ieee_inexact 0
		.amdhsa_exception_int_div_zero 0
	.end_amdhsa_kernel
	.section	.text._ZN6thrust23THRUST_200600_302600_NS11hip_rocprim14__parallel_for6kernelILj256ENS1_10for_each_fINS0_10device_ptrI14custom_numericEENS0_6detail16wrapped_functionINS8_23allocator_traits_detail5gozerEvEEEElLj1EEEvT0_T1_SF_,"axG",@progbits,_ZN6thrust23THRUST_200600_302600_NS11hip_rocprim14__parallel_for6kernelILj256ENS1_10for_each_fINS0_10device_ptrI14custom_numericEENS0_6detail16wrapped_functionINS8_23allocator_traits_detail5gozerEvEEEElLj1EEEvT0_T1_SF_,comdat
.Lfunc_end17:
	.size	_ZN6thrust23THRUST_200600_302600_NS11hip_rocprim14__parallel_for6kernelILj256ENS1_10for_each_fINS0_10device_ptrI14custom_numericEENS0_6detail16wrapped_functionINS8_23allocator_traits_detail5gozerEvEEEElLj1EEEvT0_T1_SF_, .Lfunc_end17-_ZN6thrust23THRUST_200600_302600_NS11hip_rocprim14__parallel_for6kernelILj256ENS1_10for_each_fINS0_10device_ptrI14custom_numericEENS0_6detail16wrapped_functionINS8_23allocator_traits_detail5gozerEvEEEElLj1EEEvT0_T1_SF_
                                        ; -- End function
	.set _ZN6thrust23THRUST_200600_302600_NS11hip_rocprim14__parallel_for6kernelILj256ENS1_10for_each_fINS0_10device_ptrI14custom_numericEENS0_6detail16wrapped_functionINS8_23allocator_traits_detail5gozerEvEEEElLj1EEEvT0_T1_SF_.num_vgpr, 0
	.set _ZN6thrust23THRUST_200600_302600_NS11hip_rocprim14__parallel_for6kernelILj256ENS1_10for_each_fINS0_10device_ptrI14custom_numericEENS0_6detail16wrapped_functionINS8_23allocator_traits_detail5gozerEvEEEElLj1EEEvT0_T1_SF_.num_agpr, 0
	.set _ZN6thrust23THRUST_200600_302600_NS11hip_rocprim14__parallel_for6kernelILj256ENS1_10for_each_fINS0_10device_ptrI14custom_numericEENS0_6detail16wrapped_functionINS8_23allocator_traits_detail5gozerEvEEEElLj1EEEvT0_T1_SF_.numbered_sgpr, 0
	.set _ZN6thrust23THRUST_200600_302600_NS11hip_rocprim14__parallel_for6kernelILj256ENS1_10for_each_fINS0_10device_ptrI14custom_numericEENS0_6detail16wrapped_functionINS8_23allocator_traits_detail5gozerEvEEEElLj1EEEvT0_T1_SF_.num_named_barrier, 0
	.set _ZN6thrust23THRUST_200600_302600_NS11hip_rocprim14__parallel_for6kernelILj256ENS1_10for_each_fINS0_10device_ptrI14custom_numericEENS0_6detail16wrapped_functionINS8_23allocator_traits_detail5gozerEvEEEElLj1EEEvT0_T1_SF_.private_seg_size, 0
	.set _ZN6thrust23THRUST_200600_302600_NS11hip_rocprim14__parallel_for6kernelILj256ENS1_10for_each_fINS0_10device_ptrI14custom_numericEENS0_6detail16wrapped_functionINS8_23allocator_traits_detail5gozerEvEEEElLj1EEEvT0_T1_SF_.uses_vcc, 0
	.set _ZN6thrust23THRUST_200600_302600_NS11hip_rocprim14__parallel_for6kernelILj256ENS1_10for_each_fINS0_10device_ptrI14custom_numericEENS0_6detail16wrapped_functionINS8_23allocator_traits_detail5gozerEvEEEElLj1EEEvT0_T1_SF_.uses_flat_scratch, 0
	.set _ZN6thrust23THRUST_200600_302600_NS11hip_rocprim14__parallel_for6kernelILj256ENS1_10for_each_fINS0_10device_ptrI14custom_numericEENS0_6detail16wrapped_functionINS8_23allocator_traits_detail5gozerEvEEEElLj1EEEvT0_T1_SF_.has_dyn_sized_stack, 0
	.set _ZN6thrust23THRUST_200600_302600_NS11hip_rocprim14__parallel_for6kernelILj256ENS1_10for_each_fINS0_10device_ptrI14custom_numericEENS0_6detail16wrapped_functionINS8_23allocator_traits_detail5gozerEvEEEElLj1EEEvT0_T1_SF_.has_recursion, 0
	.set _ZN6thrust23THRUST_200600_302600_NS11hip_rocprim14__parallel_for6kernelILj256ENS1_10for_each_fINS0_10device_ptrI14custom_numericEENS0_6detail16wrapped_functionINS8_23allocator_traits_detail5gozerEvEEEElLj1EEEvT0_T1_SF_.has_indirect_call, 0
	.section	.AMDGPU.csdata,"",@progbits
; Kernel info:
; codeLenInByte = 4
; TotalNumSgprs: 4
; NumVgprs: 0
; ScratchSize: 0
; MemoryBound: 0
; FloatMode: 240
; IeeeMode: 1
; LDSByteSize: 0 bytes/workgroup (compile time only)
; SGPRBlocks: 0
; VGPRBlocks: 0
; NumSGPRsForWavesPerEU: 4
; NumVGPRsForWavesPerEU: 1
; Occupancy: 10
; WaveLimiterHint : 0
; COMPUTE_PGM_RSRC2:SCRATCH_EN: 0
; COMPUTE_PGM_RSRC2:USER_SGPR: 6
; COMPUTE_PGM_RSRC2:TRAP_HANDLER: 0
; COMPUTE_PGM_RSRC2:TGID_X_EN: 1
; COMPUTE_PGM_RSRC2:TGID_Y_EN: 0
; COMPUTE_PGM_RSRC2:TGID_Z_EN: 0
; COMPUTE_PGM_RSRC2:TIDIG_COMP_CNT: 0
	.section	.text._ZN6thrust23THRUST_200600_302600_NS11hip_rocprim14__parallel_for6kernelILj256ENS0_6system3hip6detail17async_for_each_fnINS0_6detail15normal_iteratorINS0_10device_ptrI14custom_numericEEEE19inplace_divide_by_2EElLj1EEEvT0_T1_SH_,"axG",@progbits,_ZN6thrust23THRUST_200600_302600_NS11hip_rocprim14__parallel_for6kernelILj256ENS0_6system3hip6detail17async_for_each_fnINS0_6detail15normal_iteratorINS0_10device_ptrI14custom_numericEEEE19inplace_divide_by_2EElLj1EEEvT0_T1_SH_,comdat
	.protected	_ZN6thrust23THRUST_200600_302600_NS11hip_rocprim14__parallel_for6kernelILj256ENS0_6system3hip6detail17async_for_each_fnINS0_6detail15normal_iteratorINS0_10device_ptrI14custom_numericEEEE19inplace_divide_by_2EElLj1EEEvT0_T1_SH_ ; -- Begin function _ZN6thrust23THRUST_200600_302600_NS11hip_rocprim14__parallel_for6kernelILj256ENS0_6system3hip6detail17async_for_each_fnINS0_6detail15normal_iteratorINS0_10device_ptrI14custom_numericEEEE19inplace_divide_by_2EElLj1EEEvT0_T1_SH_
	.globl	_ZN6thrust23THRUST_200600_302600_NS11hip_rocprim14__parallel_for6kernelILj256ENS0_6system3hip6detail17async_for_each_fnINS0_6detail15normal_iteratorINS0_10device_ptrI14custom_numericEEEE19inplace_divide_by_2EElLj1EEEvT0_T1_SH_
	.p2align	8
	.type	_ZN6thrust23THRUST_200600_302600_NS11hip_rocprim14__parallel_for6kernelILj256ENS0_6system3hip6detail17async_for_each_fnINS0_6detail15normal_iteratorINS0_10device_ptrI14custom_numericEEEE19inplace_divide_by_2EElLj1EEEvT0_T1_SH_,@function
_ZN6thrust23THRUST_200600_302600_NS11hip_rocprim14__parallel_for6kernelILj256ENS0_6system3hip6detail17async_for_each_fnINS0_6detail15normal_iteratorINS0_10device_ptrI14custom_numericEEEE19inplace_divide_by_2EElLj1EEEvT0_T1_SH_: ; @_ZN6thrust23THRUST_200600_302600_NS11hip_rocprim14__parallel_for6kernelILj256ENS0_6system3hip6detail17async_for_each_fnINS0_6detail15normal_iteratorINS0_10device_ptrI14custom_numericEEEE19inplace_divide_by_2EElLj1EEEvT0_T1_SH_
; %bb.0:
	s_load_dwordx4 s[0:3], s[4:5], 0x10
	s_lshl_b32 s6, s6, 8
	v_mov_b32_e32 v1, 0x100
	v_mov_b32_e32 v2, 0
	s_waitcnt lgkmcnt(0)
	s_add_u32 s6, s2, s6
	s_addc_u32 s7, s3, 0
	s_sub_u32 s2, s0, s6
	s_subb_u32 s3, s1, s7
	v_cmp_lt_i64_e32 vcc, s[2:3], v[1:2]
	s_load_dwordx2 s[0:1], s[4:5], 0x0
	s_and_b64 s[4:5], vcc, exec
	s_cselect_b32 s4, s2, 0x100
	s_cmpk_eq_i32 s4, 0x100
	s_mov_b64 s[2:3], -1
	s_cbranch_scc0 .LBB18_3
; %bb.1:
	s_andn2_b64 vcc, exec, s[2:3]
	s_cbranch_vccz .LBB18_6
.LBB18_2:
	s_endpgm
.LBB18_3:
	v_cmp_gt_u32_e32 vcc, s4, v0
	s_and_saveexec_b64 s[2:3], vcc
	s_cbranch_execz .LBB18_5
; %bb.4:
	s_mul_i32 s4, s7, 20
	s_mul_hi_u32 s5, s6, 20
	s_add_i32 s5, s5, s4
	s_mul_i32 s4, s6, 20
	s_waitcnt lgkmcnt(0)
	s_add_u32 s4, s0, s4
	s_addc_u32 s5, s1, s5
	v_mad_u64_u32 v[5:6], s[4:5], v0, 20, s[4:5]
	flat_load_dword v1, v[5:6]
	s_waitcnt vmcnt(0) lgkmcnt(0)
	v_lshrrev_b32_e32 v2, 31, v1
	v_add_u32_e32 v1, v1, v2
	v_ashrrev_i32_e32 v1, 1, v1
	v_mov_b32_e32 v2, v1
	v_mov_b32_e32 v3, v1
	v_mov_b32_e32 v4, v1
	flat_store_dwordx4 v[5:6], v[1:4]
	flat_store_dword v[5:6], v1 offset:16
.LBB18_5:
	s_or_b64 exec, exec, s[2:3]
	s_cbranch_execnz .LBB18_2
.LBB18_6:
	s_mul_i32 s7, s7, 20
	s_mul_hi_u32 s2, s6, 20
	s_add_i32 s2, s2, s7
	s_mul_i32 s6, s6, 20
	s_waitcnt lgkmcnt(0)
	s_add_u32 s0, s0, s6
	s_addc_u32 s1, s1, s2
	v_mad_u64_u32 v[4:5], s[0:1], v0, 20, s[0:1]
	flat_load_dword v0, v[4:5]
	s_waitcnt vmcnt(0) lgkmcnt(0)
	v_lshrrev_b32_e32 v1, 31, v0
	v_add_u32_e32 v0, v0, v1
	v_ashrrev_i32_e32 v0, 1, v0
	v_mov_b32_e32 v1, v0
	v_mov_b32_e32 v2, v0
	;; [unrolled: 1-line block ×3, first 2 shown]
	flat_store_dwordx4 v[4:5], v[0:3]
	flat_store_dword v[4:5], v0 offset:16
	s_endpgm
	.section	.rodata,"a",@progbits
	.p2align	6, 0x0
	.amdhsa_kernel _ZN6thrust23THRUST_200600_302600_NS11hip_rocprim14__parallel_for6kernelILj256ENS0_6system3hip6detail17async_for_each_fnINS0_6detail15normal_iteratorINS0_10device_ptrI14custom_numericEEEE19inplace_divide_by_2EElLj1EEEvT0_T1_SH_
		.amdhsa_group_segment_fixed_size 0
		.amdhsa_private_segment_fixed_size 0
		.amdhsa_kernarg_size 32
		.amdhsa_user_sgpr_count 6
		.amdhsa_user_sgpr_private_segment_buffer 1
		.amdhsa_user_sgpr_dispatch_ptr 0
		.amdhsa_user_sgpr_queue_ptr 0
		.amdhsa_user_sgpr_kernarg_segment_ptr 1
		.amdhsa_user_sgpr_dispatch_id 0
		.amdhsa_user_sgpr_flat_scratch_init 0
		.amdhsa_user_sgpr_private_segment_size 0
		.amdhsa_uses_dynamic_stack 0
		.amdhsa_system_sgpr_private_segment_wavefront_offset 0
		.amdhsa_system_sgpr_workgroup_id_x 1
		.amdhsa_system_sgpr_workgroup_id_y 0
		.amdhsa_system_sgpr_workgroup_id_z 0
		.amdhsa_system_sgpr_workgroup_info 0
		.amdhsa_system_vgpr_workitem_id 0
		.amdhsa_next_free_vgpr 7
		.amdhsa_next_free_sgpr 8
		.amdhsa_reserve_vcc 1
		.amdhsa_reserve_flat_scratch 0
		.amdhsa_float_round_mode_32 0
		.amdhsa_float_round_mode_16_64 0
		.amdhsa_float_denorm_mode_32 3
		.amdhsa_float_denorm_mode_16_64 3
		.amdhsa_dx10_clamp 1
		.amdhsa_ieee_mode 1
		.amdhsa_fp16_overflow 0
		.amdhsa_exception_fp_ieee_invalid_op 0
		.amdhsa_exception_fp_denorm_src 0
		.amdhsa_exception_fp_ieee_div_zero 0
		.amdhsa_exception_fp_ieee_overflow 0
		.amdhsa_exception_fp_ieee_underflow 0
		.amdhsa_exception_fp_ieee_inexact 0
		.amdhsa_exception_int_div_zero 0
	.end_amdhsa_kernel
	.section	.text._ZN6thrust23THRUST_200600_302600_NS11hip_rocprim14__parallel_for6kernelILj256ENS0_6system3hip6detail17async_for_each_fnINS0_6detail15normal_iteratorINS0_10device_ptrI14custom_numericEEEE19inplace_divide_by_2EElLj1EEEvT0_T1_SH_,"axG",@progbits,_ZN6thrust23THRUST_200600_302600_NS11hip_rocprim14__parallel_for6kernelILj256ENS0_6system3hip6detail17async_for_each_fnINS0_6detail15normal_iteratorINS0_10device_ptrI14custom_numericEEEE19inplace_divide_by_2EElLj1EEEvT0_T1_SH_,comdat
.Lfunc_end18:
	.size	_ZN6thrust23THRUST_200600_302600_NS11hip_rocprim14__parallel_for6kernelILj256ENS0_6system3hip6detail17async_for_each_fnINS0_6detail15normal_iteratorINS0_10device_ptrI14custom_numericEEEE19inplace_divide_by_2EElLj1EEEvT0_T1_SH_, .Lfunc_end18-_ZN6thrust23THRUST_200600_302600_NS11hip_rocprim14__parallel_for6kernelILj256ENS0_6system3hip6detail17async_for_each_fnINS0_6detail15normal_iteratorINS0_10device_ptrI14custom_numericEEEE19inplace_divide_by_2EElLj1EEEvT0_T1_SH_
                                        ; -- End function
	.set _ZN6thrust23THRUST_200600_302600_NS11hip_rocprim14__parallel_for6kernelILj256ENS0_6system3hip6detail17async_for_each_fnINS0_6detail15normal_iteratorINS0_10device_ptrI14custom_numericEEEE19inplace_divide_by_2EElLj1EEEvT0_T1_SH_.num_vgpr, 7
	.set _ZN6thrust23THRUST_200600_302600_NS11hip_rocprim14__parallel_for6kernelILj256ENS0_6system3hip6detail17async_for_each_fnINS0_6detail15normal_iteratorINS0_10device_ptrI14custom_numericEEEE19inplace_divide_by_2EElLj1EEEvT0_T1_SH_.num_agpr, 0
	.set _ZN6thrust23THRUST_200600_302600_NS11hip_rocprim14__parallel_for6kernelILj256ENS0_6system3hip6detail17async_for_each_fnINS0_6detail15normal_iteratorINS0_10device_ptrI14custom_numericEEEE19inplace_divide_by_2EElLj1EEEvT0_T1_SH_.numbered_sgpr, 8
	.set _ZN6thrust23THRUST_200600_302600_NS11hip_rocprim14__parallel_for6kernelILj256ENS0_6system3hip6detail17async_for_each_fnINS0_6detail15normal_iteratorINS0_10device_ptrI14custom_numericEEEE19inplace_divide_by_2EElLj1EEEvT0_T1_SH_.num_named_barrier, 0
	.set _ZN6thrust23THRUST_200600_302600_NS11hip_rocprim14__parallel_for6kernelILj256ENS0_6system3hip6detail17async_for_each_fnINS0_6detail15normal_iteratorINS0_10device_ptrI14custom_numericEEEE19inplace_divide_by_2EElLj1EEEvT0_T1_SH_.private_seg_size, 0
	.set _ZN6thrust23THRUST_200600_302600_NS11hip_rocprim14__parallel_for6kernelILj256ENS0_6system3hip6detail17async_for_each_fnINS0_6detail15normal_iteratorINS0_10device_ptrI14custom_numericEEEE19inplace_divide_by_2EElLj1EEEvT0_T1_SH_.uses_vcc, 1
	.set _ZN6thrust23THRUST_200600_302600_NS11hip_rocprim14__parallel_for6kernelILj256ENS0_6system3hip6detail17async_for_each_fnINS0_6detail15normal_iteratorINS0_10device_ptrI14custom_numericEEEE19inplace_divide_by_2EElLj1EEEvT0_T1_SH_.uses_flat_scratch, 0
	.set _ZN6thrust23THRUST_200600_302600_NS11hip_rocprim14__parallel_for6kernelILj256ENS0_6system3hip6detail17async_for_each_fnINS0_6detail15normal_iteratorINS0_10device_ptrI14custom_numericEEEE19inplace_divide_by_2EElLj1EEEvT0_T1_SH_.has_dyn_sized_stack, 0
	.set _ZN6thrust23THRUST_200600_302600_NS11hip_rocprim14__parallel_for6kernelILj256ENS0_6system3hip6detail17async_for_each_fnINS0_6detail15normal_iteratorINS0_10device_ptrI14custom_numericEEEE19inplace_divide_by_2EElLj1EEEvT0_T1_SH_.has_recursion, 0
	.set _ZN6thrust23THRUST_200600_302600_NS11hip_rocprim14__parallel_for6kernelILj256ENS0_6system3hip6detail17async_for_each_fnINS0_6detail15normal_iteratorINS0_10device_ptrI14custom_numericEEEE19inplace_divide_by_2EElLj1EEEvT0_T1_SH_.has_indirect_call, 0
	.section	.AMDGPU.csdata,"",@progbits
; Kernel info:
; codeLenInByte = 292
; TotalNumSgprs: 12
; NumVgprs: 7
; ScratchSize: 0
; MemoryBound: 0
; FloatMode: 240
; IeeeMode: 1
; LDSByteSize: 0 bytes/workgroup (compile time only)
; SGPRBlocks: 1
; VGPRBlocks: 1
; NumSGPRsForWavesPerEU: 12
; NumVGPRsForWavesPerEU: 7
; Occupancy: 10
; WaveLimiterHint : 0
; COMPUTE_PGM_RSRC2:SCRATCH_EN: 0
; COMPUTE_PGM_RSRC2:USER_SGPR: 6
; COMPUTE_PGM_RSRC2:TRAP_HANDLER: 0
; COMPUTE_PGM_RSRC2:TGID_X_EN: 1
; COMPUTE_PGM_RSRC2:TGID_Y_EN: 0
; COMPUTE_PGM_RSRC2:TGID_Z_EN: 0
; COMPUTE_PGM_RSRC2:TIDIG_COMP_CNT: 0
	.section	.text._ZN6thrust23THRUST_200600_302600_NS11hip_rocprim14__parallel_for6kernelILj256ENS1_20__uninitialized_copy7functorINS0_6detail15normal_iteratorINS0_10device_ptrIK14custom_numericEEEENS0_7pointerIS9_NS1_3tagENS0_11use_defaultESF_EEEEmLj1EEEvT0_T1_SJ_,"axG",@progbits,_ZN6thrust23THRUST_200600_302600_NS11hip_rocprim14__parallel_for6kernelILj256ENS1_20__uninitialized_copy7functorINS0_6detail15normal_iteratorINS0_10device_ptrIK14custom_numericEEEENS0_7pointerIS9_NS1_3tagENS0_11use_defaultESF_EEEEmLj1EEEvT0_T1_SJ_,comdat
	.protected	_ZN6thrust23THRUST_200600_302600_NS11hip_rocprim14__parallel_for6kernelILj256ENS1_20__uninitialized_copy7functorINS0_6detail15normal_iteratorINS0_10device_ptrIK14custom_numericEEEENS0_7pointerIS9_NS1_3tagENS0_11use_defaultESF_EEEEmLj1EEEvT0_T1_SJ_ ; -- Begin function _ZN6thrust23THRUST_200600_302600_NS11hip_rocprim14__parallel_for6kernelILj256ENS1_20__uninitialized_copy7functorINS0_6detail15normal_iteratorINS0_10device_ptrIK14custom_numericEEEENS0_7pointerIS9_NS1_3tagENS0_11use_defaultESF_EEEEmLj1EEEvT0_T1_SJ_
	.globl	_ZN6thrust23THRUST_200600_302600_NS11hip_rocprim14__parallel_for6kernelILj256ENS1_20__uninitialized_copy7functorINS0_6detail15normal_iteratorINS0_10device_ptrIK14custom_numericEEEENS0_7pointerIS9_NS1_3tagENS0_11use_defaultESF_EEEEmLj1EEEvT0_T1_SJ_
	.p2align	8
	.type	_ZN6thrust23THRUST_200600_302600_NS11hip_rocprim14__parallel_for6kernelILj256ENS1_20__uninitialized_copy7functorINS0_6detail15normal_iteratorINS0_10device_ptrIK14custom_numericEEEENS0_7pointerIS9_NS1_3tagENS0_11use_defaultESF_EEEEmLj1EEEvT0_T1_SJ_,@function
_ZN6thrust23THRUST_200600_302600_NS11hip_rocprim14__parallel_for6kernelILj256ENS1_20__uninitialized_copy7functorINS0_6detail15normal_iteratorINS0_10device_ptrIK14custom_numericEEEENS0_7pointerIS9_NS1_3tagENS0_11use_defaultESF_EEEEmLj1EEEvT0_T1_SJ_: ; @_ZN6thrust23THRUST_200600_302600_NS11hip_rocprim14__parallel_for6kernelILj256ENS1_20__uninitialized_copy7functorINS0_6detail15normal_iteratorINS0_10device_ptrIK14custom_numericEEEENS0_7pointerIS9_NS1_3tagENS0_11use_defaultESF_EEEEmLj1EEEvT0_T1_SJ_
; %bb.0:
	s_load_dwordx8 s[8:15], s[4:5], 0x0
	s_lshl_b32 s0, s6, 8
	v_mov_b32_e32 v1, 0xff
	v_mov_b32_e32 v2, 0
	s_mov_b64 s[2:3], -1
	s_waitcnt lgkmcnt(0)
	s_add_u32 s4, s14, s0
	s_addc_u32 s5, s15, 0
	s_sub_u32 s0, s12, s4
	s_subb_u32 s1, s13, s5
	v_cmp_gt_u64_e32 vcc, s[0:1], v[1:2]
	s_cbranch_vccz .LBB19_3
; %bb.1:
	s_andn2_b64 vcc, exec, s[2:3]
	s_cbranch_vccz .LBB19_6
.LBB19_2:
	s_endpgm
.LBB19_3:
	v_cmp_gt_u32_e32 vcc, s0, v0
	s_and_saveexec_b64 s[0:1], vcc
	s_cbranch_execz .LBB19_5
; %bb.4:
	v_mov_b32_e32 v1, s5
	v_add_co_u32_e32 v3, vcc, s4, v0
	v_addc_co_u32_e32 v1, vcc, 0, v1, vcc
	v_mul_lo_u32 v4, v1, 20
	v_mad_u64_u32 v[1:2], s[2:3], v3, 20, s[8:9]
	v_mad_u64_u32 v[5:6], s[2:3], v3, 20, s[10:11]
	v_add_u32_e32 v2, v4, v2
	flat_load_dword v1, v[1:2]
	v_add_u32_e32 v6, v4, v6
	s_waitcnt vmcnt(0) lgkmcnt(0)
	v_mov_b32_e32 v2, v1
	v_mov_b32_e32 v3, v1
	;; [unrolled: 1-line block ×3, first 2 shown]
	flat_store_dwordx4 v[5:6], v[1:4]
	flat_store_dword v[5:6], v1 offset:16
.LBB19_5:
	s_or_b64 exec, exec, s[0:1]
	s_cbranch_execnz .LBB19_2
.LBB19_6:
	v_mov_b32_e32 v1, s5
	v_add_co_u32_e32 v2, vcc, s4, v0
	v_addc_co_u32_e32 v3, vcc, 0, v1, vcc
	v_mad_u64_u32 v[0:1], s[0:1], v2, 20, s[8:9]
	v_mul_lo_u32 v3, v3, 20
	v_mad_u64_u32 v[4:5], s[0:1], v2, 20, s[10:11]
	v_add_u32_e32 v1, v3, v1
	flat_load_dword v0, v[0:1]
	v_add_u32_e32 v5, v3, v5
	s_waitcnt vmcnt(0) lgkmcnt(0)
	v_mov_b32_e32 v1, v0
	v_mov_b32_e32 v2, v0
	;; [unrolled: 1-line block ×3, first 2 shown]
	flat_store_dwordx4 v[4:5], v[0:3]
	flat_store_dword v[4:5], v0 offset:16
	s_endpgm
	.section	.rodata,"a",@progbits
	.p2align	6, 0x0
	.amdhsa_kernel _ZN6thrust23THRUST_200600_302600_NS11hip_rocprim14__parallel_for6kernelILj256ENS1_20__uninitialized_copy7functorINS0_6detail15normal_iteratorINS0_10device_ptrIK14custom_numericEEEENS0_7pointerIS9_NS1_3tagENS0_11use_defaultESF_EEEEmLj1EEEvT0_T1_SJ_
		.amdhsa_group_segment_fixed_size 0
		.amdhsa_private_segment_fixed_size 0
		.amdhsa_kernarg_size 32
		.amdhsa_user_sgpr_count 6
		.amdhsa_user_sgpr_private_segment_buffer 1
		.amdhsa_user_sgpr_dispatch_ptr 0
		.amdhsa_user_sgpr_queue_ptr 0
		.amdhsa_user_sgpr_kernarg_segment_ptr 1
		.amdhsa_user_sgpr_dispatch_id 0
		.amdhsa_user_sgpr_flat_scratch_init 0
		.amdhsa_user_sgpr_private_segment_size 0
		.amdhsa_uses_dynamic_stack 0
		.amdhsa_system_sgpr_private_segment_wavefront_offset 0
		.amdhsa_system_sgpr_workgroup_id_x 1
		.amdhsa_system_sgpr_workgroup_id_y 0
		.amdhsa_system_sgpr_workgroup_id_z 0
		.amdhsa_system_sgpr_workgroup_info 0
		.amdhsa_system_vgpr_workitem_id 0
		.amdhsa_next_free_vgpr 7
		.amdhsa_next_free_sgpr 16
		.amdhsa_reserve_vcc 1
		.amdhsa_reserve_flat_scratch 0
		.amdhsa_float_round_mode_32 0
		.amdhsa_float_round_mode_16_64 0
		.amdhsa_float_denorm_mode_32 3
		.amdhsa_float_denorm_mode_16_64 3
		.amdhsa_dx10_clamp 1
		.amdhsa_ieee_mode 1
		.amdhsa_fp16_overflow 0
		.amdhsa_exception_fp_ieee_invalid_op 0
		.amdhsa_exception_fp_denorm_src 0
		.amdhsa_exception_fp_ieee_div_zero 0
		.amdhsa_exception_fp_ieee_overflow 0
		.amdhsa_exception_fp_ieee_underflow 0
		.amdhsa_exception_fp_ieee_inexact 0
		.amdhsa_exception_int_div_zero 0
	.end_amdhsa_kernel
	.section	.text._ZN6thrust23THRUST_200600_302600_NS11hip_rocprim14__parallel_for6kernelILj256ENS1_20__uninitialized_copy7functorINS0_6detail15normal_iteratorINS0_10device_ptrIK14custom_numericEEEENS0_7pointerIS9_NS1_3tagENS0_11use_defaultESF_EEEEmLj1EEEvT0_T1_SJ_,"axG",@progbits,_ZN6thrust23THRUST_200600_302600_NS11hip_rocprim14__parallel_for6kernelILj256ENS1_20__uninitialized_copy7functorINS0_6detail15normal_iteratorINS0_10device_ptrIK14custom_numericEEEENS0_7pointerIS9_NS1_3tagENS0_11use_defaultESF_EEEEmLj1EEEvT0_T1_SJ_,comdat
.Lfunc_end19:
	.size	_ZN6thrust23THRUST_200600_302600_NS11hip_rocprim14__parallel_for6kernelILj256ENS1_20__uninitialized_copy7functorINS0_6detail15normal_iteratorINS0_10device_ptrIK14custom_numericEEEENS0_7pointerIS9_NS1_3tagENS0_11use_defaultESF_EEEEmLj1EEEvT0_T1_SJ_, .Lfunc_end19-_ZN6thrust23THRUST_200600_302600_NS11hip_rocprim14__parallel_for6kernelILj256ENS1_20__uninitialized_copy7functorINS0_6detail15normal_iteratorINS0_10device_ptrIK14custom_numericEEEENS0_7pointerIS9_NS1_3tagENS0_11use_defaultESF_EEEEmLj1EEEvT0_T1_SJ_
                                        ; -- End function
	.set _ZN6thrust23THRUST_200600_302600_NS11hip_rocprim14__parallel_for6kernelILj256ENS1_20__uninitialized_copy7functorINS0_6detail15normal_iteratorINS0_10device_ptrIK14custom_numericEEEENS0_7pointerIS9_NS1_3tagENS0_11use_defaultESF_EEEEmLj1EEEvT0_T1_SJ_.num_vgpr, 7
	.set _ZN6thrust23THRUST_200600_302600_NS11hip_rocprim14__parallel_for6kernelILj256ENS1_20__uninitialized_copy7functorINS0_6detail15normal_iteratorINS0_10device_ptrIK14custom_numericEEEENS0_7pointerIS9_NS1_3tagENS0_11use_defaultESF_EEEEmLj1EEEvT0_T1_SJ_.num_agpr, 0
	.set _ZN6thrust23THRUST_200600_302600_NS11hip_rocprim14__parallel_for6kernelILj256ENS1_20__uninitialized_copy7functorINS0_6detail15normal_iteratorINS0_10device_ptrIK14custom_numericEEEENS0_7pointerIS9_NS1_3tagENS0_11use_defaultESF_EEEEmLj1EEEvT0_T1_SJ_.numbered_sgpr, 16
	.set _ZN6thrust23THRUST_200600_302600_NS11hip_rocprim14__parallel_for6kernelILj256ENS1_20__uninitialized_copy7functorINS0_6detail15normal_iteratorINS0_10device_ptrIK14custom_numericEEEENS0_7pointerIS9_NS1_3tagENS0_11use_defaultESF_EEEEmLj1EEEvT0_T1_SJ_.num_named_barrier, 0
	.set _ZN6thrust23THRUST_200600_302600_NS11hip_rocprim14__parallel_for6kernelILj256ENS1_20__uninitialized_copy7functorINS0_6detail15normal_iteratorINS0_10device_ptrIK14custom_numericEEEENS0_7pointerIS9_NS1_3tagENS0_11use_defaultESF_EEEEmLj1EEEvT0_T1_SJ_.private_seg_size, 0
	.set _ZN6thrust23THRUST_200600_302600_NS11hip_rocprim14__parallel_for6kernelILj256ENS1_20__uninitialized_copy7functorINS0_6detail15normal_iteratorINS0_10device_ptrIK14custom_numericEEEENS0_7pointerIS9_NS1_3tagENS0_11use_defaultESF_EEEEmLj1EEEvT0_T1_SJ_.uses_vcc, 1
	.set _ZN6thrust23THRUST_200600_302600_NS11hip_rocprim14__parallel_for6kernelILj256ENS1_20__uninitialized_copy7functorINS0_6detail15normal_iteratorINS0_10device_ptrIK14custom_numericEEEENS0_7pointerIS9_NS1_3tagENS0_11use_defaultESF_EEEEmLj1EEEvT0_T1_SJ_.uses_flat_scratch, 0
	.set _ZN6thrust23THRUST_200600_302600_NS11hip_rocprim14__parallel_for6kernelILj256ENS1_20__uninitialized_copy7functorINS0_6detail15normal_iteratorINS0_10device_ptrIK14custom_numericEEEENS0_7pointerIS9_NS1_3tagENS0_11use_defaultESF_EEEEmLj1EEEvT0_T1_SJ_.has_dyn_sized_stack, 0
	.set _ZN6thrust23THRUST_200600_302600_NS11hip_rocprim14__parallel_for6kernelILj256ENS1_20__uninitialized_copy7functorINS0_6detail15normal_iteratorINS0_10device_ptrIK14custom_numericEEEENS0_7pointerIS9_NS1_3tagENS0_11use_defaultESF_EEEEmLj1EEEvT0_T1_SJ_.has_recursion, 0
	.set _ZN6thrust23THRUST_200600_302600_NS11hip_rocprim14__parallel_for6kernelILj256ENS1_20__uninitialized_copy7functorINS0_6detail15normal_iteratorINS0_10device_ptrIK14custom_numericEEEENS0_7pointerIS9_NS1_3tagENS0_11use_defaultESF_EEEEmLj1EEEvT0_T1_SJ_.has_indirect_call, 0
	.section	.AMDGPU.csdata,"",@progbits
; Kernel info:
; codeLenInByte = 260
; TotalNumSgprs: 20
; NumVgprs: 7
; ScratchSize: 0
; MemoryBound: 0
; FloatMode: 240
; IeeeMode: 1
; LDSByteSize: 0 bytes/workgroup (compile time only)
; SGPRBlocks: 2
; VGPRBlocks: 1
; NumSGPRsForWavesPerEU: 20
; NumVGPRsForWavesPerEU: 7
; Occupancy: 10
; WaveLimiterHint : 0
; COMPUTE_PGM_RSRC2:SCRATCH_EN: 0
; COMPUTE_PGM_RSRC2:USER_SGPR: 6
; COMPUTE_PGM_RSRC2:TRAP_HANDLER: 0
; COMPUTE_PGM_RSRC2:TGID_X_EN: 1
; COMPUTE_PGM_RSRC2:TGID_Y_EN: 0
; COMPUTE_PGM_RSRC2:TGID_Z_EN: 0
; COMPUTE_PGM_RSRC2:TIDIG_COMP_CNT: 0
	.section	.AMDGPU.gpr_maximums,"",@progbits
	.set amdgpu.max_num_vgpr, 0
	.set amdgpu.max_num_agpr, 0
	.set amdgpu.max_num_sgpr, 0
	.section	.AMDGPU.csdata,"",@progbits
	.type	__hip_cuid_ab40df16063c3585,@object ; @__hip_cuid_ab40df16063c3585
	.section	.bss,"aw",@nobits
	.globl	__hip_cuid_ab40df16063c3585
__hip_cuid_ab40df16063c3585:
	.byte	0                               ; 0x0
	.size	__hip_cuid_ab40df16063c3585, 1

	.ident	"AMD clang version 22.0.0git (https://github.com/RadeonOpenCompute/llvm-project roc-7.2.4 26084 f58b06dce1f9c15707c5f808fd002e18c2accf7e)"
	.section	".note.GNU-stack","",@progbits
	.addrsig
	.addrsig_sym __hip_cuid_ab40df16063c3585
	.amdgpu_metadata
---
amdhsa.kernels:
  - .args:
      - .offset:         0
        .size:           16
        .value_kind:     by_value
      - .offset:         16
        .size:           8
        .value_kind:     by_value
      - .offset:         24
        .size:           8
        .value_kind:     by_value
    .group_segment_fixed_size: 0
    .kernarg_segment_align: 8
    .kernarg_segment_size: 32
    .language:       OpenCL C
    .language_version:
      - 2
      - 0
    .max_flat_workgroup_size: 256
    .name:           _ZN6thrust23THRUST_200600_302600_NS11hip_rocprim14__parallel_for6kernelILj256ENS0_6system3hip6detail17async_for_each_fnINS0_6detail15normal_iteratorINS0_10device_ptrIcEEEE19inplace_divide_by_2EElLj1EEEvT0_T1_SG_
    .private_segment_fixed_size: 0
    .sgpr_count:     12
    .sgpr_spill_count: 0
    .symbol:         _ZN6thrust23THRUST_200600_302600_NS11hip_rocprim14__parallel_for6kernelILj256ENS0_6system3hip6detail17async_for_each_fnINS0_6detail15normal_iteratorINS0_10device_ptrIcEEEE19inplace_divide_by_2EElLj1EEEvT0_T1_SG_.kd
    .uniform_work_group_size: 1
    .uses_dynamic_stack: false
    .vgpr_count:     5
    .vgpr_spill_count: 0
    .wavefront_size: 64
  - .args:
      - .offset:         0
        .size:           16
        .value_kind:     by_value
      - .offset:         16
        .size:           8
        .value_kind:     by_value
      - .offset:         24
        .size:           8
        .value_kind:     by_value
    .group_segment_fixed_size: 0
    .kernarg_segment_align: 8
    .kernarg_segment_size: 32
    .language:       OpenCL C
    .language_version:
      - 2
      - 0
    .max_flat_workgroup_size: 256
    .name:           _ZN6thrust23THRUST_200600_302600_NS11hip_rocprim14__parallel_for6kernelILj256ENS0_6system3hip6detail17async_for_each_fnINS0_6detail15normal_iteratorINS0_10device_ptrIaEEEE19inplace_divide_by_2EElLj1EEEvT0_T1_SG_
    .private_segment_fixed_size: 0
    .sgpr_count:     12
    .sgpr_spill_count: 0
    .symbol:         _ZN6thrust23THRUST_200600_302600_NS11hip_rocprim14__parallel_for6kernelILj256ENS0_6system3hip6detail17async_for_each_fnINS0_6detail15normal_iteratorINS0_10device_ptrIaEEEE19inplace_divide_by_2EElLj1EEEvT0_T1_SG_.kd
    .uniform_work_group_size: 1
    .uses_dynamic_stack: false
    .vgpr_count:     5
    .vgpr_spill_count: 0
    .wavefront_size: 64
  - .args:
      - .offset:         0
        .size:           16
        .value_kind:     by_value
      - .offset:         16
        .size:           8
        .value_kind:     by_value
      - .offset:         24
        .size:           8
        .value_kind:     by_value
    .group_segment_fixed_size: 0
    .kernarg_segment_align: 8
    .kernarg_segment_size: 32
    .language:       OpenCL C
    .language_version:
      - 2
      - 0
    .max_flat_workgroup_size: 256
    .name:           _ZN6thrust23THRUST_200600_302600_NS11hip_rocprim14__parallel_for6kernelILj256ENS0_6system3hip6detail17async_for_each_fnINS0_6detail15normal_iteratorINS0_10device_ptrIhEEEE19inplace_divide_by_2EElLj1EEEvT0_T1_SG_
    .private_segment_fixed_size: 0
    .sgpr_count:     12
    .sgpr_spill_count: 0
    .symbol:         _ZN6thrust23THRUST_200600_302600_NS11hip_rocprim14__parallel_for6kernelILj256ENS0_6system3hip6detail17async_for_each_fnINS0_6detail15normal_iteratorINS0_10device_ptrIhEEEE19inplace_divide_by_2EElLj1EEEvT0_T1_SG_.kd
    .uniform_work_group_size: 1
    .uses_dynamic_stack: false
    .vgpr_count:     4
    .vgpr_spill_count: 0
    .wavefront_size: 64
  - .args:
      - .offset:         0
        .size:           16
        .value_kind:     by_value
      - .offset:         16
        .size:           8
        .value_kind:     by_value
      - .offset:         24
        .size:           8
        .value_kind:     by_value
    .group_segment_fixed_size: 0
    .kernarg_segment_align: 8
    .kernarg_segment_size: 32
    .language:       OpenCL C
    .language_version:
      - 2
      - 0
    .max_flat_workgroup_size: 256
    .name:           _ZN6thrust23THRUST_200600_302600_NS11hip_rocprim14__parallel_for6kernelILj256ENS0_6system3hip6detail17async_for_each_fnINS0_6detail15normal_iteratorINS0_10device_ptrIsEEEE19inplace_divide_by_2EElLj1EEEvT0_T1_SG_
    .private_segment_fixed_size: 0
    .sgpr_count:     16
    .sgpr_spill_count: 0
    .symbol:         _ZN6thrust23THRUST_200600_302600_NS11hip_rocprim14__parallel_for6kernelILj256ENS0_6system3hip6detail17async_for_each_fnINS0_6detail15normal_iteratorINS0_10device_ptrIsEEEE19inplace_divide_by_2EElLj1EEEvT0_T1_SG_.kd
    .uniform_work_group_size: 1
    .uses_dynamic_stack: false
    .vgpr_count:     5
    .vgpr_spill_count: 0
    .wavefront_size: 64
  - .args:
      - .offset:         0
        .size:           16
        .value_kind:     by_value
      - .offset:         16
        .size:           8
        .value_kind:     by_value
      - .offset:         24
        .size:           8
        .value_kind:     by_value
    .group_segment_fixed_size: 0
    .kernarg_segment_align: 8
    .kernarg_segment_size: 32
    .language:       OpenCL C
    .language_version:
      - 2
      - 0
    .max_flat_workgroup_size: 256
    .name:           _ZN6thrust23THRUST_200600_302600_NS11hip_rocprim14__parallel_for6kernelILj256ENS0_6system3hip6detail17async_for_each_fnINS0_6detail15normal_iteratorINS0_10device_ptrItEEEE19inplace_divide_by_2EElLj1EEEvT0_T1_SG_
    .private_segment_fixed_size: 0
    .sgpr_count:     16
    .sgpr_spill_count: 0
    .symbol:         _ZN6thrust23THRUST_200600_302600_NS11hip_rocprim14__parallel_for6kernelILj256ENS0_6system3hip6detail17async_for_each_fnINS0_6detail15normal_iteratorINS0_10device_ptrItEEEE19inplace_divide_by_2EElLj1EEEvT0_T1_SG_.kd
    .uniform_work_group_size: 1
    .uses_dynamic_stack: false
    .vgpr_count:     4
    .vgpr_spill_count: 0
    .wavefront_size: 64
  - .args:
      - .offset:         0
        .size:           16
        .value_kind:     by_value
      - .offset:         16
        .size:           8
        .value_kind:     by_value
      - .offset:         24
        .size:           8
        .value_kind:     by_value
    .group_segment_fixed_size: 0
    .kernarg_segment_align: 8
    .kernarg_segment_size: 32
    .language:       OpenCL C
    .language_version:
      - 2
      - 0
    .max_flat_workgroup_size: 256
    .name:           _ZN6thrust23THRUST_200600_302600_NS11hip_rocprim14__parallel_for6kernelILj256ENS0_6system3hip6detail17async_for_each_fnINS0_6detail15normal_iteratorINS0_10device_ptrIiEEEE19inplace_divide_by_2EElLj1EEEvT0_T1_SG_
    .private_segment_fixed_size: 0
    .sgpr_count:     16
    .sgpr_spill_count: 0
    .symbol:         _ZN6thrust23THRUST_200600_302600_NS11hip_rocprim14__parallel_for6kernelILj256ENS0_6system3hip6detail17async_for_each_fnINS0_6detail15normal_iteratorINS0_10device_ptrIiEEEE19inplace_divide_by_2EElLj1EEEvT0_T1_SG_.kd
    .uniform_work_group_size: 1
    .uses_dynamic_stack: false
    .vgpr_count:     5
    .vgpr_spill_count: 0
    .wavefront_size: 64
  - .args:
      - .offset:         0
        .size:           16
        .value_kind:     by_value
      - .offset:         16
        .size:           8
        .value_kind:     by_value
      - .offset:         24
        .size:           8
        .value_kind:     by_value
    .group_segment_fixed_size: 0
    .kernarg_segment_align: 8
    .kernarg_segment_size: 32
    .language:       OpenCL C
    .language_version:
      - 2
      - 0
    .max_flat_workgroup_size: 256
    .name:           _ZN6thrust23THRUST_200600_302600_NS11hip_rocprim14__parallel_for6kernelILj256ENS0_6system3hip6detail17async_for_each_fnINS0_6detail15normal_iteratorINS0_10device_ptrIjEEEE19inplace_divide_by_2EElLj1EEEvT0_T1_SG_
    .private_segment_fixed_size: 0
    .sgpr_count:     16
    .sgpr_spill_count: 0
    .symbol:         _ZN6thrust23THRUST_200600_302600_NS11hip_rocprim14__parallel_for6kernelILj256ENS0_6system3hip6detail17async_for_each_fnINS0_6detail15normal_iteratorINS0_10device_ptrIjEEEE19inplace_divide_by_2EElLj1EEEvT0_T1_SG_.kd
    .uniform_work_group_size: 1
    .uses_dynamic_stack: false
    .vgpr_count:     4
    .vgpr_spill_count: 0
    .wavefront_size: 64
  - .args:
      - .offset:         0
        .size:           16
        .value_kind:     by_value
      - .offset:         16
        .size:           8
        .value_kind:     by_value
      - .offset:         24
        .size:           8
        .value_kind:     by_value
    .group_segment_fixed_size: 0
    .kernarg_segment_align: 8
    .kernarg_segment_size: 32
    .language:       OpenCL C
    .language_version:
      - 2
      - 0
    .max_flat_workgroup_size: 256
    .name:           _ZN6thrust23THRUST_200600_302600_NS11hip_rocprim14__parallel_for6kernelILj256ENS0_6system3hip6detail17async_for_each_fnINS0_6detail15normal_iteratorINS0_10device_ptrIlEEEE19inplace_divide_by_2EElLj1EEEvT0_T1_SG_
    .private_segment_fixed_size: 0
    .sgpr_count:     16
    .sgpr_spill_count: 0
    .symbol:         _ZN6thrust23THRUST_200600_302600_NS11hip_rocprim14__parallel_for6kernelILj256ENS0_6system3hip6detail17async_for_each_fnINS0_6detail15normal_iteratorINS0_10device_ptrIlEEEE19inplace_divide_by_2EElLj1EEEvT0_T1_SG_.kd
    .uniform_work_group_size: 1
    .uses_dynamic_stack: false
    .vgpr_count:     6
    .vgpr_spill_count: 0
    .wavefront_size: 64
  - .args:
      - .offset:         0
        .size:           16
        .value_kind:     by_value
      - .offset:         16
        .size:           8
        .value_kind:     by_value
      - .offset:         24
        .size:           8
        .value_kind:     by_value
    .group_segment_fixed_size: 0
    .kernarg_segment_align: 8
    .kernarg_segment_size: 32
    .language:       OpenCL C
    .language_version:
      - 2
      - 0
    .max_flat_workgroup_size: 256
    .name:           _ZN6thrust23THRUST_200600_302600_NS11hip_rocprim14__parallel_for6kernelILj256ENS0_6system3hip6detail17async_for_each_fnINS0_6detail15normal_iteratorINS0_10device_ptrImEEEE19inplace_divide_by_2EElLj1EEEvT0_T1_SG_
    .private_segment_fixed_size: 0
    .sgpr_count:     16
    .sgpr_spill_count: 0
    .symbol:         _ZN6thrust23THRUST_200600_302600_NS11hip_rocprim14__parallel_for6kernelILj256ENS0_6system3hip6detail17async_for_each_fnINS0_6detail15normal_iteratorINS0_10device_ptrImEEEE19inplace_divide_by_2EElLj1EEEvT0_T1_SG_.kd
    .uniform_work_group_size: 1
    .uses_dynamic_stack: false
    .vgpr_count:     5
    .vgpr_spill_count: 0
    .wavefront_size: 64
  - .args:
      - .offset:         0
        .size:           16
        .value_kind:     by_value
      - .offset:         16
        .size:           8
        .value_kind:     by_value
      - .offset:         24
        .size:           8
        .value_kind:     by_value
    .group_segment_fixed_size: 0
    .kernarg_segment_align: 8
    .kernarg_segment_size: 32
    .language:       OpenCL C
    .language_version:
      - 2
      - 0
    .max_flat_workgroup_size: 256
    .name:           _ZN6thrust23THRUST_200600_302600_NS11hip_rocprim14__parallel_for6kernelILj256ENS0_6system3hip6detail17async_for_each_fnINS0_6detail15normal_iteratorINS0_10device_ptrIxEEEE19inplace_divide_by_2EElLj1EEEvT0_T1_SG_
    .private_segment_fixed_size: 0
    .sgpr_count:     16
    .sgpr_spill_count: 0
    .symbol:         _ZN6thrust23THRUST_200600_302600_NS11hip_rocprim14__parallel_for6kernelILj256ENS0_6system3hip6detail17async_for_each_fnINS0_6detail15normal_iteratorINS0_10device_ptrIxEEEE19inplace_divide_by_2EElLj1EEEvT0_T1_SG_.kd
    .uniform_work_group_size: 1
    .uses_dynamic_stack: false
    .vgpr_count:     6
    .vgpr_spill_count: 0
    .wavefront_size: 64
  - .args:
      - .offset:         0
        .size:           16
        .value_kind:     by_value
      - .offset:         16
        .size:           8
        .value_kind:     by_value
      - .offset:         24
        .size:           8
        .value_kind:     by_value
    .group_segment_fixed_size: 0
    .kernarg_segment_align: 8
    .kernarg_segment_size: 32
    .language:       OpenCL C
    .language_version:
      - 2
      - 0
    .max_flat_workgroup_size: 256
    .name:           _ZN6thrust23THRUST_200600_302600_NS11hip_rocprim14__parallel_for6kernelILj256ENS0_6system3hip6detail17async_for_each_fnINS0_6detail15normal_iteratorINS0_10device_ptrIyEEEE19inplace_divide_by_2EElLj1EEEvT0_T1_SG_
    .private_segment_fixed_size: 0
    .sgpr_count:     16
    .sgpr_spill_count: 0
    .symbol:         _ZN6thrust23THRUST_200600_302600_NS11hip_rocprim14__parallel_for6kernelILj256ENS0_6system3hip6detail17async_for_each_fnINS0_6detail15normal_iteratorINS0_10device_ptrIyEEEE19inplace_divide_by_2EElLj1EEEvT0_T1_SG_.kd
    .uniform_work_group_size: 1
    .uses_dynamic_stack: false
    .vgpr_count:     5
    .vgpr_spill_count: 0
    .wavefront_size: 64
  - .args:
      - .offset:         0
        .size:           16
        .value_kind:     by_value
      - .offset:         16
        .size:           8
        .value_kind:     by_value
      - .offset:         24
        .size:           8
        .value_kind:     by_value
    .group_segment_fixed_size: 0
    .kernarg_segment_align: 8
    .kernarg_segment_size: 32
    .language:       OpenCL C
    .language_version:
      - 2
      - 0
    .max_flat_workgroup_size: 256
    .name:           _ZN6thrust23THRUST_200600_302600_NS11hip_rocprim14__parallel_for6kernelILj256ENS0_6system3hip6detail17async_for_each_fnINS0_6detail15normal_iteratorINS0_10device_ptrIfEEEE19inplace_divide_by_2EElLj1EEEvT0_T1_SG_
    .private_segment_fixed_size: 0
    .sgpr_count:     16
    .sgpr_spill_count: 0
    .symbol:         _ZN6thrust23THRUST_200600_302600_NS11hip_rocprim14__parallel_for6kernelILj256ENS0_6system3hip6detail17async_for_each_fnINS0_6detail15normal_iteratorINS0_10device_ptrIfEEEE19inplace_divide_by_2EElLj1EEEvT0_T1_SG_.kd
    .uniform_work_group_size: 1
    .uses_dynamic_stack: false
    .vgpr_count:     4
    .vgpr_spill_count: 0
    .wavefront_size: 64
  - .args:
      - .offset:         0
        .size:           16
        .value_kind:     by_value
      - .offset:         16
        .size:           8
        .value_kind:     by_value
      - .offset:         24
        .size:           8
        .value_kind:     by_value
    .group_segment_fixed_size: 0
    .kernarg_segment_align: 8
    .kernarg_segment_size: 32
    .language:       OpenCL C
    .language_version:
      - 2
      - 0
    .max_flat_workgroup_size: 256
    .name:           _ZN6thrust23THRUST_200600_302600_NS11hip_rocprim14__parallel_for6kernelILj256ENS0_6system3hip6detail17async_for_each_fnINS0_6detail15normal_iteratorINS0_10device_ptrIdEEEE19inplace_divide_by_2EElLj1EEEvT0_T1_SG_
    .private_segment_fixed_size: 0
    .sgpr_count:     16
    .sgpr_spill_count: 0
    .symbol:         _ZN6thrust23THRUST_200600_302600_NS11hip_rocprim14__parallel_for6kernelILj256ENS0_6system3hip6detail17async_for_each_fnINS0_6detail15normal_iteratorINS0_10device_ptrIdEEEE19inplace_divide_by_2EElLj1EEEvT0_T1_SG_.kd
    .uniform_work_group_size: 1
    .uses_dynamic_stack: false
    .vgpr_count:     5
    .vgpr_spill_count: 0
    .wavefront_size: 64
  - .args:
      - .offset:         0
        .size:           16
        .value_kind:     by_value
      - .offset:         16
        .size:           8
        .value_kind:     by_value
      - .offset:         24
        .size:           8
        .value_kind:     by_value
    .group_segment_fixed_size: 0
    .kernarg_segment_align: 8
    .kernarg_segment_size: 32
    .language:       OpenCL C
    .language_version:
      - 2
      - 0
    .max_flat_workgroup_size: 256
    .name:           _ZN6thrust23THRUST_200600_302600_NS11hip_rocprim14__parallel_for6kernelILj256ENS1_10for_each_fINS0_7pointerI14custom_numericNS1_3tagENS0_11use_defaultES8_EENS0_6detail16wrapped_functionINSA_23allocator_traits_detail24construct1_via_allocatorINSA_18no_throw_allocatorINSA_19temporary_allocatorIS6_S7_EEEEEEvEEEEmLj1EEEvT0_T1_SM_
    .private_segment_fixed_size: 0
    .sgpr_count:     16
    .sgpr_spill_count: 0
    .symbol:         _ZN6thrust23THRUST_200600_302600_NS11hip_rocprim14__parallel_for6kernelILj256ENS1_10for_each_fINS0_7pointerI14custom_numericNS1_3tagENS0_11use_defaultES8_EENS0_6detail16wrapped_functionINSA_23allocator_traits_detail24construct1_via_allocatorINSA_18no_throw_allocatorINSA_19temporary_allocatorIS6_S7_EEEEEEvEEEEmLj1EEEvT0_T1_SM_.kd
    .uniform_work_group_size: 1
    .uses_dynamic_stack: false
    .vgpr_count:     7
    .vgpr_spill_count: 0
    .wavefront_size: 64
  - .args:
      - .offset:         0
        .size:           16
        .value_kind:     by_value
      - .offset:         16
        .size:           8
        .value_kind:     by_value
      - .offset:         24
        .size:           8
        .value_kind:     by_value
    .group_segment_fixed_size: 0
    .kernarg_segment_align: 8
    .kernarg_segment_size: 32
    .language:       OpenCL C
    .language_version:
      - 2
      - 0
    .max_flat_workgroup_size: 256
    .name:           _ZN6thrust23THRUST_200600_302600_NS11hip_rocprim14__parallel_for6kernelILj256ENS1_10for_each_fINS0_7pointerI14custom_numericNS1_3tagENS0_11use_defaultES8_EENS0_6detail16wrapped_functionINSA_23allocator_traits_detail5gozerEvEEEElLj1EEEvT0_T1_SH_
    .private_segment_fixed_size: 0
    .sgpr_count:     4
    .sgpr_spill_count: 0
    .symbol:         _ZN6thrust23THRUST_200600_302600_NS11hip_rocprim14__parallel_for6kernelILj256ENS1_10for_each_fINS0_7pointerI14custom_numericNS1_3tagENS0_11use_defaultES8_EENS0_6detail16wrapped_functionINSA_23allocator_traits_detail5gozerEvEEEElLj1EEEvT0_T1_SH_.kd
    .uniform_work_group_size: 1
    .uses_dynamic_stack: false
    .vgpr_count:     0
    .vgpr_spill_count: 0
    .wavefront_size: 64
  - .args:
      - .offset:         0
        .size:           24
        .value_kind:     by_value
      - .offset:         24
        .size:           8
        .value_kind:     by_value
      - .offset:         32
        .size:           8
        .value_kind:     by_value
    .group_segment_fixed_size: 0
    .kernarg_segment_align: 8
    .kernarg_segment_size: 40
    .language:       OpenCL C
    .language_version:
      - 2
      - 0
    .max_flat_workgroup_size: 256
    .name:           _ZN6thrust23THRUST_200600_302600_NS11hip_rocprim14__parallel_for6kernelILj256ENS1_11__transform17unary_transform_fINS0_7pointerI14custom_numericNS1_3tagENS0_11use_defaultES9_EENS0_10device_ptrIS7_EENS4_14no_stencil_tagENS0_8identityIS7_EENS4_21always_true_predicateEEElLj1EEEvT0_T1_SJ_
    .private_segment_fixed_size: 0
    .sgpr_count:     14
    .sgpr_spill_count: 0
    .symbol:         _ZN6thrust23THRUST_200600_302600_NS11hip_rocprim14__parallel_for6kernelILj256ENS1_11__transform17unary_transform_fINS0_7pointerI14custom_numericNS1_3tagENS0_11use_defaultES9_EENS0_10device_ptrIS7_EENS4_14no_stencil_tagENS0_8identityIS7_EENS4_21always_true_predicateEEElLj1EEEvT0_T1_SJ_.kd
    .uniform_work_group_size: 1
    .uses_dynamic_stack: false
    .vgpr_count:     7
    .vgpr_spill_count: 0
    .wavefront_size: 64
  - .args:
      - .offset:         0
        .size:           16
        .value_kind:     by_value
      - .offset:         16
        .size:           8
        .value_kind:     by_value
      - .offset:         24
        .size:           8
        .value_kind:     by_value
    .group_segment_fixed_size: 0
    .kernarg_segment_align: 8
    .kernarg_segment_size: 32
    .language:       OpenCL C
    .language_version:
      - 2
      - 0
    .max_flat_workgroup_size: 256
    .name:           _ZN6thrust23THRUST_200600_302600_NS11hip_rocprim14__parallel_for6kernelILj256ENS1_20__uninitialized_copy7functorINS0_7pointerI14custom_numericNS1_3tagENS0_11use_defaultES9_EESA_EEmLj1EEEvT0_T1_SD_
    .private_segment_fixed_size: 0
    .sgpr_count:     20
    .sgpr_spill_count: 0
    .symbol:         _ZN6thrust23THRUST_200600_302600_NS11hip_rocprim14__parallel_for6kernelILj256ENS1_20__uninitialized_copy7functorINS0_7pointerI14custom_numericNS1_3tagENS0_11use_defaultES9_EESA_EEmLj1EEEvT0_T1_SD_.kd
    .uniform_work_group_size: 1
    .uses_dynamic_stack: false
    .vgpr_count:     7
    .vgpr_spill_count: 0
    .wavefront_size: 64
  - .args:
      - .offset:         0
        .size:           16
        .value_kind:     by_value
      - .offset:         16
        .size:           8
        .value_kind:     by_value
      - .offset:         24
        .size:           8
        .value_kind:     by_value
    .group_segment_fixed_size: 0
    .kernarg_segment_align: 8
    .kernarg_segment_size: 32
    .language:       OpenCL C
    .language_version:
      - 2
      - 0
    .max_flat_workgroup_size: 256
    .name:           _ZN6thrust23THRUST_200600_302600_NS11hip_rocprim14__parallel_for6kernelILj256ENS1_10for_each_fINS0_10device_ptrI14custom_numericEENS0_6detail16wrapped_functionINS8_23allocator_traits_detail5gozerEvEEEElLj1EEEvT0_T1_SF_
    .private_segment_fixed_size: 0
    .sgpr_count:     4
    .sgpr_spill_count: 0
    .symbol:         _ZN6thrust23THRUST_200600_302600_NS11hip_rocprim14__parallel_for6kernelILj256ENS1_10for_each_fINS0_10device_ptrI14custom_numericEENS0_6detail16wrapped_functionINS8_23allocator_traits_detail5gozerEvEEEElLj1EEEvT0_T1_SF_.kd
    .uniform_work_group_size: 1
    .uses_dynamic_stack: false
    .vgpr_count:     0
    .vgpr_spill_count: 0
    .wavefront_size: 64
  - .args:
      - .offset:         0
        .size:           16
        .value_kind:     by_value
      - .offset:         16
        .size:           8
        .value_kind:     by_value
      - .offset:         24
        .size:           8
        .value_kind:     by_value
    .group_segment_fixed_size: 0
    .kernarg_segment_align: 8
    .kernarg_segment_size: 32
    .language:       OpenCL C
    .language_version:
      - 2
      - 0
    .max_flat_workgroup_size: 256
    .name:           _ZN6thrust23THRUST_200600_302600_NS11hip_rocprim14__parallel_for6kernelILj256ENS0_6system3hip6detail17async_for_each_fnINS0_6detail15normal_iteratorINS0_10device_ptrI14custom_numericEEEE19inplace_divide_by_2EElLj1EEEvT0_T1_SH_
    .private_segment_fixed_size: 0
    .sgpr_count:     12
    .sgpr_spill_count: 0
    .symbol:         _ZN6thrust23THRUST_200600_302600_NS11hip_rocprim14__parallel_for6kernelILj256ENS0_6system3hip6detail17async_for_each_fnINS0_6detail15normal_iteratorINS0_10device_ptrI14custom_numericEEEE19inplace_divide_by_2EElLj1EEEvT0_T1_SH_.kd
    .uniform_work_group_size: 1
    .uses_dynamic_stack: false
    .vgpr_count:     7
    .vgpr_spill_count: 0
    .wavefront_size: 64
  - .args:
      - .offset:         0
        .size:           16
        .value_kind:     by_value
      - .offset:         16
        .size:           8
        .value_kind:     by_value
      - .offset:         24
        .size:           8
        .value_kind:     by_value
    .group_segment_fixed_size: 0
    .kernarg_segment_align: 8
    .kernarg_segment_size: 32
    .language:       OpenCL C
    .language_version:
      - 2
      - 0
    .max_flat_workgroup_size: 256
    .name:           _ZN6thrust23THRUST_200600_302600_NS11hip_rocprim14__parallel_for6kernelILj256ENS1_20__uninitialized_copy7functorINS0_6detail15normal_iteratorINS0_10device_ptrIK14custom_numericEEEENS0_7pointerIS9_NS1_3tagENS0_11use_defaultESF_EEEEmLj1EEEvT0_T1_SJ_
    .private_segment_fixed_size: 0
    .sgpr_count:     20
    .sgpr_spill_count: 0
    .symbol:         _ZN6thrust23THRUST_200600_302600_NS11hip_rocprim14__parallel_for6kernelILj256ENS1_20__uninitialized_copy7functorINS0_6detail15normal_iteratorINS0_10device_ptrIK14custom_numericEEEENS0_7pointerIS9_NS1_3tagENS0_11use_defaultESF_EEEEmLj1EEEvT0_T1_SJ_.kd
    .uniform_work_group_size: 1
    .uses_dynamic_stack: false
    .vgpr_count:     7
    .vgpr_spill_count: 0
    .wavefront_size: 64
amdhsa.target:   amdgcn-amd-amdhsa--gfx906
amdhsa.version:
  - 1
  - 2
...

	.end_amdgpu_metadata
